;; amdgpu-corpus repo=ROCm/rocFFT kind=compiled arch=gfx950 opt=O3
	.text
	.amdgcn_target "amdgcn-amd-amdhsa--gfx950"
	.amdhsa_code_object_version 6
	.protected	bluestein_single_fwd_len169_dim1_sp_op_CI_CI ; -- Begin function bluestein_single_fwd_len169_dim1_sp_op_CI_CI
	.globl	bluestein_single_fwd_len169_dim1_sp_op_CI_CI
	.p2align	8
	.type	bluestein_single_fwd_len169_dim1_sp_op_CI_CI,@function
bluestein_single_fwd_len169_dim1_sp_op_CI_CI: ; @bluestein_single_fwd_len169_dim1_sp_op_CI_CI
; %bb.0:
	s_load_dwordx4 s[16:19], s[0:1], 0x28
	v_mul_u32_u24_e32 v1, 0x13b2, v0
	v_lshrrev_b32_e32 v2, 16, v1
	v_mad_u64_u32 v[36:37], s[2:3], s2, 19, v[2:3]
	v_mov_b32_e32 v37, 0
	s_waitcnt lgkmcnt(0)
	v_cmp_gt_u64_e32 vcc, s[16:17], v[36:37]
	s_and_saveexec_b64 s[2:3], vcc
	s_cbranch_execz .LBB0_2
; %bb.1:
	s_load_dwordx4 s[4:7], s[0:1], 0x18
	s_load_dwordx4 s[8:11], s[0:1], 0x0
	v_mul_lo_u16_e32 v1, 13, v2
	v_sub_u16_e32 v161, v0, v1
	v_mov_b32_e32 v4, s18
	s_waitcnt lgkmcnt(0)
	s_load_dwordx4 s[12:15], s[4:5], 0x0
	v_mov_b32_e32 v5, s19
	v_mov_b32_e32 v37, 0x68
	v_lshlrev_b32_e32 v163, 3, v161
	s_mov_b32 s24, 0xbeedf032
	s_waitcnt lgkmcnt(0)
	v_mad_u64_u32 v[0:1], s[2:3], s14, v36, 0
	v_mov_b32_e32 v2, v1
	v_mad_u64_u32 v[2:3], s[2:3], s15, v36, v[2:3]
	v_mov_b32_e32 v1, v2
	v_mad_u64_u32 v[2:3], s[2:3], s12, v161, 0
	v_mov_b32_e32 v6, v3
	v_mad_u64_u32 v[6:7], s[2:3], s13, v161, v[6:7]
	v_mov_b32_e32 v3, v6
	v_lshl_add_u64 v[0:1], v[0:1], 3, v[4:5]
	v_lshl_add_u64 v[0:1], v[2:3], 3, v[0:1]
	global_load_dwordx2 v[2:3], v[0:1], off
	v_mad_u64_u32 v[0:1], s[2:3], s12, v37, v[0:1]
	s_mul_i32 s4, s13, 0x68
	v_add_u32_e32 v1, s4, v1
	global_load_dwordx2 v[4:5], v[0:1], off
	global_load_dwordx2 v[52:53], v163, s[8:9]
	v_mad_u64_u32 v[0:1], s[2:3], s12, v37, v[0:1]
	v_add_u32_e32 v1, s4, v1
	v_mad_u64_u32 v[6:7], s[2:3], s12, v37, v[0:1]
	v_add_u32_e32 v7, s4, v7
	global_load_dwordx2 v[54:55], v163, s[8:9] offset:104
	global_load_dwordx2 v[50:51], v163, s[8:9] offset:208
	;; [unrolled: 1-line block ×3, first 2 shown]
	global_load_dwordx2 v[8:9], v[0:1], off
	v_mad_u64_u32 v[0:1], s[2:3], s12, v37, v[6:7]
	v_add_u32_e32 v1, s4, v1
	global_load_dwordx2 v[10:11], v[6:7], off
	global_load_dwordx2 v[12:13], v[0:1], off
	v_mad_u64_u32 v[0:1], s[2:3], s12, v37, v[0:1]
	v_add_u32_e32 v1, s4, v1
	global_load_dwordx2 v[6:7], v[0:1], off
	global_load_dwordx2 v[48:49], v163, s[8:9] offset:416
	v_mad_u64_u32 v[0:1], s[2:3], s12, v37, v[0:1]
	v_add_u32_e32 v1, s4, v1
	global_load_dwordx2 v[46:47], v163, s[8:9] offset:520
	global_load_dwordx2 v[14:15], v[0:1], off
	v_mad_u64_u32 v[0:1], s[2:3], s12, v37, v[0:1]
	v_add_u32_e32 v1, s4, v1
	global_load_dwordx2 v[42:43], v163, s[8:9] offset:624
	global_load_dwordx2 v[16:17], v[0:1], off
	global_load_dwordx2 v[40:41], v163, s[8:9] offset:728
	v_mad_u64_u32 v[0:1], s[2:3], s12, v37, v[0:1]
	v_add_u32_e32 v1, s4, v1
	global_load_dwordx2 v[18:19], v[0:1], off
	v_mad_u64_u32 v[0:1], s[2:3], s12, v37, v[0:1]
	v_add_u32_e32 v1, s4, v1
	global_load_dwordx2 v[38:39], v163, s[8:9] offset:832
	global_load_dwordx2 v[20:21], v[0:1], off
	global_load_dwordx2 v[34:35], v163, s[8:9] offset:936
	v_mad_u64_u32 v[0:1], s[2:3], s12, v37, v[0:1]
	v_add_u32_e32 v1, s4, v1
	global_load_dwordx2 v[22:23], v[0:1], off
	global_load_dwordx2 v[32:33], v163, s[8:9] offset:1040
	v_mad_u64_u32 v[0:1], s[2:3], s12, v37, v[0:1]
	v_add_u32_e32 v1, s4, v1
	;; [unrolled: 4-line block ×3, first 2 shown]
	global_load_dwordx2 v[28:29], v163, s[8:9] offset:1248
	global_load_dwordx2 v[26:27], v[0:1], off
	s_mov_b32 s2, 0xaf286bcb
	v_mul_hi_u32 v0, v36, s2
	v_sub_u32_e32 v1, v36, v0
	v_lshrrev_b32_e32 v1, 1, v1
	v_add_u32_e32 v0, v1, v0
	v_lshrrev_b32_e32 v0, 4, v0
	v_mul_lo_u32 v0, v0, 19
	v_sub_u32_e32 v0, v36, v0
	v_mul_u32_u24_e32 v1, 0xa9, v0
	v_lshlrev_b32_e32 v80, 3, v1
	v_add_u32_e32 v160, v163, v80
	s_load_dwordx4 s[4:7], s[6:7], 0x0
	s_mov_b32 s25, 0x3f62ad3f
	s_mov_b32 s52, s25
	;; [unrolled: 1-line block ×22, first 2 shown]
	s_waitcnt vmcnt(23)
	v_mul_f32_e32 v0, v3, v53
	v_mul_f32_e32 v1, v2, v53
	v_fmac_f32_e32 v0, v2, v52
	v_fma_f32 v1, v3, v52, -v1
	s_mov_b32 s43, s18
	s_mov_b32 s26, 0x3f29c268
	s_mov_b32 s50, s15
	s_waitcnt vmcnt(22)
	v_mul_f32_e32 v2, v5, v55
	v_mul_f32_e32 v3, v4, v55
	v_fmac_f32_e32 v2, v4, v54
	v_fma_f32 v3, v5, v54, -v3
	ds_write2_b64 v160, v[0:1], v[2:3] offset1:13
	s_waitcnt vmcnt(19)
	v_mul_f32_e32 v0, v9, v51
	v_mul_f32_e32 v1, v8, v51
	s_waitcnt vmcnt(18)
	v_mul_f32_e32 v2, v11, v45
	v_mul_f32_e32 v3, v10, v45
	v_fmac_f32_e32 v0, v8, v50
	v_fma_f32 v1, v9, v50, -v1
	v_fmac_f32_e32 v2, v10, v44
	v_fma_f32 v3, v11, v44, -v3
	ds_write2_b64 v160, v[0:1], v[2:3] offset0:26 offset1:39
	s_waitcnt vmcnt(15)
	v_mul_f32_e32 v0, v13, v49
	v_mul_f32_e32 v1, v12, v49
	s_waitcnt vmcnt(14)
	v_mul_f32_e32 v2, v7, v47
	v_mul_f32_e32 v3, v6, v47
	v_fmac_f32_e32 v0, v12, v48
	v_fma_f32 v1, v13, v48, -v1
	v_fmac_f32_e32 v2, v6, v46
	v_fma_f32 v3, v7, v46, -v3
	ds_write2_b64 v160, v[0:1], v[2:3] offset0:52 offset1:65
	;; [unrolled: 11-line block ×5, first 2 shown]
	s_waitcnt vmcnt(0)
	v_mul_f32_e32 v0, v27, v29
	v_mul_f32_e32 v1, v26, v29
	v_fmac_f32_e32 v0, v26, v28
	v_fma_f32 v1, v27, v28, -v1
	ds_write_b64 v160, v[0:1] offset:1248
	s_waitcnt lgkmcnt(0)
	s_barrier
	ds_read2_b64 v[4:7], v160 offset0:26 offset1:39
	ds_read2_b64 v[8:11], v160 offset0:130 offset1:143
	;; [unrolled: 1-line block ×5, first 2 shown]
	ds_read_b64 v[24:25], v160 offset:1248
	ds_read2_b64 v[0:3], v160 offset1:13
	s_waitcnt lgkmcnt(5)
	v_pk_add_f32 v[82:83], v[10:11], v[4:5]
	v_pk_add_f32 v[26:27], v[4:5], v[10:11] neg_lo:[0,1] neg_hi:[0,1]
	v_pk_add_f32 v[68:69], v[8:9], v[6:7]
	v_pk_add_f32 v[56:57], v[6:7], v[8:9] neg_lo:[0,1] neg_hi:[0,1]
	s_waitcnt lgkmcnt(0)
	v_pk_add_f32 v[60:61], v[0:1], v[2:3]
	v_pk_add_f32 v[88:89], v[24:25], v[2:3]
	;; [unrolled: 1-line block ×5, first 2 shown]
	v_pk_add_f32 v[6:7], v[2:3], v[24:25] neg_lo:[0,1] neg_hi:[0,1]
	v_pk_add_f32 v[4:5], v[4:5], v[12:13]
	v_pk_add_f32 v[60:61], v[14:15], v[20:21] neg_lo:[0,1] neg_hi:[0,1]
	v_pk_add_f32 v[4:5], v[4:5], v[14:15]
	v_pk_add_f32 v[76:77], v[22:23], v[12:13]
	;; [unrolled: 1-line block ×3, first 2 shown]
	v_pk_add_f32 v[58:59], v[12:13], v[22:23] neg_lo:[0,1] neg_hi:[0,1]
	v_pk_add_f32 v[4:5], v[4:5], v[18:19]
	v_pk_add_f32 v[74:75], v[18:19], v[16:17]
	;; [unrolled: 1-line block ×3, first 2 shown]
	v_pk_add_f32 v[62:63], v[16:17], v[18:19] neg_lo:[0,1] neg_hi:[0,1]
	v_pk_add_f32 v[2:3], v[2:3], v[22:23]
	s_nop 0
	v_pk_add_f32 v[2:3], v[2:3], v[8:9]
	s_barrier
	v_pk_add_f32 v[2:3], v[2:3], v[10:11]
	s_nop 0
	v_pk_add_f32 v[66:67], v[2:3], v[24:25]
	v_mov_b32_e32 v3, v89
	v_mov_b32_e32 v89, v6
	;; [unrolled: 1-line block ×3, first 2 shown]
	v_pk_mul_f32 v[6:7], v[88:89], s[52:53]
	s_mov_b32 s51, s26
	v_pk_fma_f32 v[8:9], v[2:3], s[24:25], v[6:7] neg_lo:[1,0,0] neg_hi:[1,0,0]
	v_pk_fma_f32 v[4:5], v[2:3], s[24:25], v[6:7]
	s_mov_b32 s27, s15
	v_mov_b32_e32 v9, v5
	v_pk_add_f32 v[14:15], v[0:1], v[8:9]
	v_mov_b32_e32 v9, v83
	v_mov_b32_e32 v83, v26
	;; [unrolled: 1-line block ×3, first 2 shown]
	v_pk_mul_f32 v[12:13], v[82:83], s[38:39]
	v_mul_lo_u16_e32 v5, 13, v161
	v_pk_fma_f32 v[16:17], v[8:9], s[12:13], v[12:13] neg_lo:[1,0,0] neg_hi:[1,0,0]
	v_pk_fma_f32 v[10:11], v[8:9], s[12:13], v[12:13]
	v_lshl_add_u32 v162, v5, 3, v80
	v_mov_b32_e32 v17, v11
	v_pk_add_f32 v[20:21], v[16:17], v[14:15]
	v_mov_b32_e32 v15, v69
	v_mov_b32_e32 v69, v56
	v_mov_b32_e32 v14, v57
	v_pk_mul_f32 v[18:19], v[68:69], s[44:45]
	v_pk_mul_f32 v[80:81], v[82:83], s[36:37]
	v_pk_fma_f32 v[22:23], v[14:15], s[16:17], v[18:19] neg_lo:[1,0,0] neg_hi:[1,0,0]
	v_pk_fma_f32 v[16:17], v[14:15], s[16:17], v[18:19]
	v_pk_fma_f32 v[86:87], v[8:9], s[2:3], v[80:81] neg_lo:[1,0,0] neg_hi:[1,0,0]
	v_mov_b32_e32 v23, v17
	v_pk_add_f32 v[26:27], v[22:23], v[20:21]
	v_mov_b32_e32 v21, v77
	v_mov_b32_e32 v77, v58
	v_mov_b32_e32 v20, v59
	v_pk_mul_f32 v[24:25], v[76:77], s[36:37]
	v_pk_mul_f32 v[90:91], v[68:69], s[42:43]
	v_pk_fma_f32 v[56:57], v[20:21], s[2:3], v[24:25] neg_lo:[1,0,0] neg_hi:[1,0,0]
	v_pk_fma_f32 v[22:23], v[20:21], s[2:3], v[24:25]
	v_pk_fma_f32 v[92:93], v[14:15], s[18:19], v[90:91] neg_lo:[1,0,0] neg_hi:[1,0,0]
	;; [unrolled: 10-line block ×3, first 2 shown]
	v_mov_b32_e32 v61, v57
	v_pk_add_f32 v[72:73], v[60:61], v[64:65]
	v_mov_b32_e32 v61, v75
	v_mov_b32_e32 v75, v62
	;; [unrolled: 1-line block ×3, first 2 shown]
	v_pk_mul_f32 v[64:65], v[74:75], s[42:43]
	s_mov_b32 s20, 0x3f7e222b
	v_pk_fma_f32 v[78:79], v[60:61], s[18:19], v[64:65] neg_lo:[1,0,0] neg_hi:[1,0,0]
	v_pk_fma_f32 v[62:63], v[60:61], s[18:19], v[64:65]
	s_mov_b32 s46, s17
	v_mov_b32_e32 v79, v63
	v_pk_add_f32 v[72:73], v[78:79], v[72:73]
	v_pk_mul_f32 v[78:79], v[88:89], s[38:39]
	ds_write2_b64 v162, v[66:67], v[72:73] offset1:1
	v_pk_fma_f32 v[84:85], v[2:3], s[12:13], v[78:79] neg_lo:[1,0,0] neg_hi:[1,0,0]
	v_pk_fma_f32 v[66:67], v[2:3], s[12:13], v[78:79]
	v_pk_fma_f32 v[72:73], v[8:9], s[2:3], v[80:81]
	v_mov_b32_e32 v85, v67
	v_mov_b32_e32 v87, v73
	v_pk_add_f32 v[84:85], v[0:1], v[84:85]
	s_mov_b32 s47, s20
	v_pk_add_f32 v[86:87], v[86:87], v[84:85]
	v_pk_fma_f32 v[84:85], v[14:15], s[18:19], v[90:91]
	s_mov_b32 s21, s17
	v_mov_b32_e32 v93, v85
	v_pk_add_f32 v[92:93], v[92:93], v[86:87]
	v_pk_fma_f32 v[86:87], v[20:21], s[26:27], v[94:95]
	s_mov_b32 s22, 0x3eedf032
	v_mov_b32_e32 v97, v87
	v_pk_add_f32 v[98:99], v[96:97], v[92:93]
	v_pk_mul_f32 v[96:97], v[70:71], s[46:47]
	s_mov_b32 s48, s25
	v_pk_fma_f32 v[100:101], v[26:27], s[20:21], v[96:97] neg_lo:[1,0,0] neg_hi:[1,0,0]
	v_pk_fma_f32 v[92:93], v[26:27], s[20:21], v[96:97]
	s_mov_b32 s49, s22
	v_mov_b32_e32 v101, v93
	v_pk_add_f32 v[102:103], v[100:101], v[98:99]
	s_mov_b32 s23, s25
	v_pk_mul_f32 v[100:101], v[74:75], s[48:49]
	v_pk_mul_f32 v[106:107], v[88:89], s[44:45]
	v_pk_fma_f32 v[104:105], v[60:61], s[22:23], v[100:101] neg_lo:[1,0,0] neg_hi:[1,0,0]
	v_pk_fma_f32 v[98:99], v[60:61], s[22:23], v[100:101]
	v_pk_fma_f32 v[110:111], v[2:3], s[16:17], v[106:107] neg_lo:[1,0,0] neg_hi:[1,0,0]
	v_mov_b32_e32 v105, v99
	v_pk_add_f32 v[126:127], v[104:105], v[102:103]
	v_pk_fma_f32 v[102:103], v[2:3], s[16:17], v[106:107]
	v_pk_mul_f32 v[108:109], v[82:83], s[42:43]
	s_mov_b32 s30, 0x3f6f5d39
	v_mov_b32_e32 v111, v103
	v_pk_fma_f32 v[112:113], v[8:9], s[18:19], v[108:109] neg_lo:[1,0,0] neg_hi:[1,0,0]
	v_pk_fma_f32 v[104:105], v[8:9], s[18:19], v[108:109]
	s_mov_b32 s58, s3
	s_mov_b32 s59, s30
	v_mov_b32_e32 v113, v105
	v_pk_add_f32 v[110:111], v[0:1], v[110:111]
	s_mov_b32 s31, s3
	v_pk_mul_f32 v[116:117], v[68:69], s[58:59]
	v_pk_add_f32 v[112:113], v[112:113], v[110:111]
	v_pk_fma_f32 v[114:115], v[14:15], s[30:31], v[116:117] neg_lo:[1,0,0] neg_hi:[1,0,0]
	v_pk_fma_f32 v[110:111], v[14:15], s[30:31], v[116:117]
	v_pk_mul_f32 v[120:121], v[76:77], s[48:49]
	v_mov_b32_e32 v115, v111
	v_pk_add_f32 v[114:115], v[114:115], v[112:113]
	v_pk_fma_f32 v[118:119], v[20:21], s[22:23], v[120:121] neg_lo:[1,0,0] neg_hi:[1,0,0]
	v_pk_fma_f32 v[112:113], v[20:21], s[22:23], v[120:121]
	v_pk_mul_f32 v[122:123], v[70:71], s[38:39]
	v_mov_b32_e32 v119, v113
	v_pk_add_f32 v[118:119], v[118:119], v[114:115]
	v_pk_fma_f32 v[124:125], v[26:27], s[12:13], v[122:123] neg_lo:[1,0,0] neg_hi:[1,0,0]
	v_pk_fma_f32 v[114:115], v[26:27], s[12:13], v[122:123]
	v_pk_mul_f32 v[132:133], v[82:83], s[50:51]
	v_mov_b32_e32 v125, v115
	v_pk_add_f32 v[128:129], v[124:125], v[118:119]
	v_pk_mul_f32 v[124:125], v[74:75], s[40:41]
	v_pk_fma_f32 v[134:135], v[8:9], s[26:27], v[132:133] neg_lo:[1,0,0] neg_hi:[1,0,0]
	v_pk_fma_f32 v[130:131], v[60:61], s[14:15], v[124:125] neg_lo:[1,0,0] neg_hi:[1,0,0]
	v_pk_fma_f32 v[118:119], v[60:61], s[14:15], v[124:125]
	v_pk_fma_f32 v[136:137], v[8:9], s[26:27], v[132:133]
	v_mov_b32_e32 v131, v119
	v_pk_add_f32 v[128:129], v[130:131], v[128:129]
	ds_write2_b64 v162, v[126:127], v[128:129] offset0:2 offset1:3
	v_pk_mul_f32 v[128:129], v[88:89], s[36:37]
	v_mov_b32_e32 v135, v137
	v_pk_fma_f32 v[130:131], v[2:3], s[2:3], v[128:129] neg_lo:[1,0,0] neg_hi:[1,0,0]
	v_pk_fma_f32 v[126:127], v[2:3], s[2:3], v[128:129]
	s_mov_b32 s34, 0x3e750f2a
	v_mov_b32_e32 v131, v127
	v_pk_add_f32 v[130:131], v[0:1], v[130:131]
	s_mov_b32 s56, s19
	v_pk_add_f32 v[130:131], v[134:135], v[130:131]
	v_pk_mul_f32 v[134:135], v[68:69], s[48:49]
	s_mov_b32 s57, s34
	v_pk_fma_f32 v[138:139], v[14:15], s[22:23], v[134:135] neg_lo:[1,0,0] neg_hi:[1,0,0]
	v_pk_fma_f32 v[140:141], v[14:15], s[22:23], v[134:135]
	s_mov_b32 s35, s19
	v_mov_b32_e32 v139, v141
	v_pk_add_f32 v[130:131], v[138:139], v[130:131]
	v_pk_mul_f32 v[138:139], v[76:77], s[44:45]
	s_mov_b32 s28, 0x3f52af12
	v_pk_fma_f32 v[142:143], v[20:21], s[16:17], v[138:139] neg_lo:[1,0,0] neg_hi:[1,0,0]
	v_pk_fma_f32 v[144:145], v[20:21], s[16:17], v[138:139]
	s_mov_b32 s54, s13
	v_mov_b32_e32 v143, v145
	;; [unrolled: 7-line block ×3, first 2 shown]
	v_pk_add_f32 v[130:131], v[146:147], v[130:131]
	v_pk_mul_f32 v[146:147], v[74:75], s[54:55]
	v_pk_mul_f32 v[158:159], v[82:83], s[46:47]
	v_pk_fma_f32 v[150:151], v[60:61], s[28:29], v[146:147] neg_lo:[1,0,0] neg_hi:[1,0,0]
	v_pk_fma_f32 v[152:153], v[60:61], s[28:29], v[146:147]
	v_pk_fma_f32 v[164:165], v[8:9], s[20:21], v[158:159] neg_lo:[1,0,0] neg_hi:[1,0,0]
	v_mov_b32_e32 v151, v153
	v_pk_add_f32 v[130:131], v[150:151], v[130:131]
	v_pk_mul_f32 v[150:151], v[88:89], s[40:41]
	v_pk_fma_f32 v[166:167], v[8:9], s[20:21], v[158:159]
	v_pk_fma_f32 v[154:155], v[2:3], s[14:15], v[150:151] neg_lo:[1,0,0] neg_hi:[1,0,0]
	v_pk_fma_f32 v[156:157], v[2:3], s[14:15], v[150:151]
	v_mov_b32_e32 v165, v167
	v_mov_b32_e32 v155, v157
	v_pk_add_f32 v[154:155], v[0:1], v[154:155]
	v_pk_mul_f32 v[88:89], v[88:89], s[42:43]
	v_pk_add_f32 v[154:155], v[164:165], v[154:155]
	v_pk_mul_f32 v[164:165], v[68:69], s[38:39]
	v_pk_mul_f32 v[82:83], v[82:83], s[48:49]
	v_pk_fma_f32 v[168:169], v[14:15], s[12:13], v[164:165] neg_lo:[1,0,0] neg_hi:[1,0,0]
	v_pk_fma_f32 v[170:171], v[14:15], s[12:13], v[164:165]
	v_pk_fma_f32 v[184:185], v[8:9], s[22:23], v[82:83]
	v_mov_b32_e32 v169, v171
	v_pk_add_f32 v[154:155], v[168:169], v[154:155]
	v_pk_mul_f32 v[168:169], v[76:77], s[56:57]
	v_pk_mul_f32 v[68:69], v[68:69], s[40:41]
	v_pk_fma_f32 v[172:173], v[20:21], s[34:35], v[168:169] neg_lo:[1,0,0] neg_hi:[1,0,0]
	v_pk_fma_f32 v[174:175], v[20:21], s[34:35], v[168:169]
	v_pk_fma_f32 v[186:187], v[14:15], s[14:15], v[68:69]
	v_mov_b32_e32 v173, v175
	;; [unrolled: 7-line block ×4, first 2 shown]
	v_pk_add_f32 v[154:155], v[180:181], v[154:155]
	ds_write2_b64 v162, v[130:131], v[154:155] offset0:4 offset1:5
	v_pk_fma_f32 v[130:131], v[2:3], s[18:19], v[88:89] neg_lo:[1,0,0] neg_hi:[1,0,0]
	v_pk_fma_f32 v[154:155], v[2:3], s[18:19], v[88:89]
	v_pk_fma_f32 v[180:181], v[8:9], s[22:23], v[82:83] neg_lo:[1,0,0] neg_hi:[1,0,0]
	v_mov_b32_e32 v131, v155
	v_mov_b32_e32 v181, v185
	v_pk_add_f32 v[130:131], v[0:1], v[130:131]
	v_pk_mul_f32 v[74:75], v[74:75], s[46:47]
	v_pk_add_f32 v[130:131], v[180:181], v[130:131]
	v_pk_fma_f32 v[180:181], v[14:15], s[14:15], v[68:69] neg_lo:[1,0,0] neg_hi:[1,0,0]
	v_pk_fma_f32 v[68:69], v[14:15], s[14:15], v[68:69] neg_lo:[0,0,1] neg_hi:[0,0,1]
	v_mov_b32_e32 v181, v187
	v_pk_add_f32 v[130:131], v[180:181], v[130:131]
	v_pk_fma_f32 v[180:181], v[20:21], s[28:29], v[76:77] neg_lo:[1,0,0] neg_hi:[1,0,0]
	v_mov_b32_e32 v187, v69
	v_mov_b32_e32 v181, v189
	v_pk_add_f32 v[130:131], v[180:181], v[130:131]
	v_pk_fma_f32 v[180:181], v[26:27], s[2:3], v[70:71] neg_lo:[1,0,0] neg_hi:[1,0,0]
	v_pk_fma_f32 v[68:69], v[20:21], s[28:29], v[76:77] neg_lo:[0,0,1] neg_hi:[0,0,1]
	v_mov_b32_e32 v181, v191
	v_pk_fma_f32 v[88:89], v[2:3], s[18:19], v[88:89] neg_lo:[0,0,1] neg_hi:[0,0,1]
	v_mov_b32_e32 v189, v69
	v_pk_fma_f32 v[68:69], v[26:27], s[2:3], v[70:71] neg_lo:[0,0,1] neg_hi:[0,0,1]
	v_pk_add_f32 v[130:131], v[180:181], v[130:131]
	v_pk_fma_f32 v[180:181], v[60:61], s[20:21], v[74:75] neg_lo:[1,0,0] neg_hi:[1,0,0]
	v_pk_fma_f32 v[192:193], v[60:61], s[20:21], v[74:75]
	v_mov_b32_e32 v155, v89
	v_pk_fma_f32 v[82:83], v[8:9], s[22:23], v[82:83] neg_lo:[0,0,1] neg_hi:[0,0,1]
	v_mov_b32_e32 v191, v69
	v_pk_fma_f32 v[68:69], v[60:61], s[20:21], v[74:75] neg_lo:[0,0,1] neg_hi:[0,0,1]
	v_mov_b32_e32 v181, v193
	v_mov_b32_e32 v185, v83
	;; [unrolled: 1-line block ×3, first 2 shown]
	v_pk_add_f32 v[68:69], v[0:1], v[154:155]
	v_pk_add_f32 v[130:131], v[180:181], v[130:131]
	;; [unrolled: 1-line block ×3, first 2 shown]
	v_pk_fma_f32 v[70:71], v[2:3], s[2:3], v[128:129] neg_lo:[0,0,1] neg_hi:[0,0,1]
	v_pk_add_f32 v[68:69], v[186:187], v[68:69]
	v_mov_b32_e32 v127, v71
	v_pk_add_f32 v[68:69], v[188:189], v[68:69]
	v_pk_fma_f32 v[70:71], v[8:9], s[26:27], v[132:133] neg_lo:[0,0,1] neg_hi:[0,0,1]
	v_pk_add_f32 v[68:69], v[190:191], v[68:69]
	v_mov_b32_e32 v137, v71
	v_pk_add_f32 v[68:69], v[192:193], v[68:69]
	ds_write2_b64 v162, v[130:131], v[68:69] offset0:6 offset1:7
	v_pk_fma_f32 v[68:69], v[2:3], s[14:15], v[150:151] neg_lo:[0,0,1] neg_hi:[0,0,1]
	v_pk_fma_f32 v[70:71], v[14:15], s[22:23], v[134:135] neg_lo:[0,0,1] neg_hi:[0,0,1]
	v_mov_b32_e32 v157, v69
	v_pk_fma_f32 v[68:69], v[8:9], s[20:21], v[158:159] neg_lo:[0,0,1] neg_hi:[0,0,1]
	v_mov_b32_e32 v141, v71
	v_mov_b32_e32 v167, v69
	v_pk_fma_f32 v[68:69], v[14:15], s[12:13], v[164:165] neg_lo:[0,0,1] neg_hi:[0,0,1]
	v_pk_fma_f32 v[70:71], v[20:21], s[16:17], v[138:139] neg_lo:[0,0,1] neg_hi:[0,0,1]
	v_mov_b32_e32 v171, v69
	v_pk_fma_f32 v[68:69], v[20:21], s[34:35], v[168:169] neg_lo:[0,0,1] neg_hi:[0,0,1]
	v_mov_b32_e32 v145, v71
	v_mov_b32_e32 v175, v69
	v_pk_fma_f32 v[68:69], v[26:27], s[22:23], v[172:173] neg_lo:[0,0,1] neg_hi:[0,0,1]
	v_pk_fma_f32 v[70:71], v[26:27], s[34:35], v[142:143] neg_lo:[0,0,1] neg_hi:[0,0,1]
	v_mov_b32_e32 v179, v69
	v_pk_fma_f32 v[68:69], v[60:61], s[2:3], v[176:177] neg_lo:[0,0,1] neg_hi:[0,0,1]
	v_mov_b32_e32 v149, v71
	;; [unrolled: 2-line block ×3, first 2 shown]
	v_pk_add_f32 v[68:69], v[0:1], v[156:157]
	v_mov_b32_e32 v153, v71
	v_pk_add_f32 v[70:71], v[0:1], v[126:127]
	v_pk_add_f32 v[68:69], v[166:167], v[68:69]
	;; [unrolled: 1-line block ×11, first 2 shown]
	ds_write2_b64 v162, v[68:69], v[70:71] offset0:8 offset1:9
	v_pk_fma_f32 v[68:69], v[2:3], s[16:17], v[106:107] neg_lo:[0,0,1] neg_hi:[0,0,1]
	v_pk_fma_f32 v[70:71], v[2:3], s[12:13], v[78:79] neg_lo:[0,0,1] neg_hi:[0,0,1]
	v_mov_b32_e32 v103, v69
	v_pk_fma_f32 v[68:69], v[8:9], s[18:19], v[108:109] neg_lo:[0,0,1] neg_hi:[0,0,1]
	v_pk_fma_f32 v[2:3], v[2:3], s[24:25], v[6:7] neg_lo:[0,0,1] neg_hi:[0,0,1]
	v_mov_b32_e32 v105, v69
	v_pk_fma_f32 v[68:69], v[14:15], s[30:31], v[116:117] neg_lo:[0,0,1] neg_hi:[0,0,1]
	v_mov_b32_e32 v67, v71
	v_mov_b32_e32 v111, v69
	v_pk_fma_f32 v[68:69], v[20:21], s[22:23], v[120:121] neg_lo:[0,0,1] neg_hi:[0,0,1]
	v_mov_b32_e32 v5, v3
	v_mov_b32_e32 v113, v69
	v_pk_fma_f32 v[68:69], v[26:27], s[12:13], v[122:123] neg_lo:[0,0,1] neg_hi:[0,0,1]
	v_pk_fma_f32 v[2:3], v[8:9], s[12:13], v[12:13] neg_lo:[0,0,1] neg_hi:[0,0,1]
	v_mov_b32_e32 v115, v69
	v_pk_fma_f32 v[68:69], v[60:61], s[14:15], v[124:125] neg_lo:[0,0,1] neg_hi:[0,0,1]
	v_pk_add_f32 v[66:67], v[0:1], v[66:67]
	v_mov_b32_e32 v119, v69
	v_pk_add_f32 v[68:69], v[0:1], v[102:103]
	v_pk_add_f32 v[0:1], v[0:1], v[4:5]
	v_mov_b32_e32 v11, v3
	v_pk_fma_f32 v[2:3], v[14:15], s[16:17], v[18:19] neg_lo:[0,0,1] neg_hi:[0,0,1]
	v_pk_fma_f32 v[70:71], v[8:9], s[2:3], v[80:81] neg_lo:[0,0,1] neg_hi:[0,0,1]
	v_pk_add_f32 v[0:1], v[10:11], v[0:1]
	v_mov_b32_e32 v17, v3
	v_pk_fma_f32 v[2:3], v[20:21], s[2:3], v[24:25] neg_lo:[0,0,1] neg_hi:[0,0,1]
	v_mov_b32_e32 v73, v71
	v_pk_fma_f32 v[70:71], v[14:15], s[18:19], v[90:91] neg_lo:[0,0,1] neg_hi:[0,0,1]
	v_pk_add_f32 v[0:1], v[16:17], v[0:1]
	v_mov_b32_e32 v23, v3
	v_pk_fma_f32 v[2:3], v[26:27], s[14:15], v[58:59] neg_lo:[0,0,1] neg_hi:[0,0,1]
	v_pk_add_f32 v[68:69], v[104:105], v[68:69]
	;; [unrolled: 3-line block ×3, first 2 shown]
	v_pk_add_f32 v[0:1], v[22:23], v[0:1]
	v_mov_b32_e32 v57, v3
	v_pk_fma_f32 v[2:3], v[60:61], s[18:19], v[64:65] neg_lo:[0,0,1] neg_hi:[0,0,1]
	v_pk_add_f32 v[68:69], v[110:111], v[68:69]
	v_mov_b32_e32 v87, v71
	v_pk_fma_f32 v[70:71], v[26:27], s[20:21], v[96:97] neg_lo:[0,0,1] neg_hi:[0,0,1]
	v_pk_add_f32 v[66:67], v[84:85], v[66:67]
	v_pk_add_f32 v[0:1], v[56:57], v[0:1]
	v_mov_b32_e32 v63, v3
	v_pk_add_f32 v[68:69], v[112:113], v[68:69]
	v_mov_b32_e32 v93, v71
	v_pk_fma_f32 v[70:71], v[60:61], s[22:23], v[100:101] neg_lo:[0,0,1] neg_hi:[0,0,1]
	v_pk_add_f32 v[66:67], v[86:87], v[66:67]
	v_pk_add_f32 v[0:1], v[62:63], v[0:1]
	;; [unrolled: 1-line block ×3, first 2 shown]
	v_mov_b32_e32 v99, v71
	v_pk_add_f32 v[66:67], v[92:93], v[66:67]
	ds_write_b64 v162, v[0:1] offset:96
	v_mul_u32_u24_e32 v0, 12, v161
	v_pk_add_f32 v[68:69], v[118:119], v[68:69]
	v_pk_add_f32 v[66:67], v[98:99], v[66:67]
	v_lshlrev_b32_e32 v12, 3, v0
	ds_write2_b64 v162, v[68:69], v[66:67] offset0:10 offset1:11
	s_waitcnt lgkmcnt(0)
	s_barrier
	global_load_dwordx4 v[0:3], v12, s[10:11] offset:16
	global_load_dwordx4 v[8:11], v12, s[10:11] offset:32
	;; [unrolled: 1-line block ×5, first 2 shown]
	s_nop 0
	global_load_dwordx4 v[12:15], v12, s[10:11]
	ds_read2_b64 v[24:27], v160 offset0:52 offset1:65
	ds_read2_b64 v[56:59], v160 offset0:78 offset1:91
	s_mov_b32 s10, s13
	s_load_dwordx2 s[0:1], s[0:1], 0x38
	s_waitcnt vmcnt(5)
	v_mov_b32_e32 v62, v3
	s_waitcnt lgkmcnt(0)
	v_pk_mul_f32 v[60:61], v[24:25], v[62:63] op_sel_hi:[1,0]
	s_waitcnt vmcnt(3)
	v_pk_mul_f32 v[64:65], v[58:59], v[4:5] op_sel:[0,1]
	v_pk_fma_f32 v[70:71], v[24:25], v[2:3], v[60:61] op_sel:[0,0,1] op_sel_hi:[1,1,0] neg_lo:[0,0,1] neg_hi:[0,0,1]
	v_pk_fma_f32 v[60:61], v[24:25], v[2:3], v[60:61] op_sel:[0,0,1] op_sel_hi:[1,0,0]
	v_pk_mul_f32 v[24:25], v[26:27], v[8:9] op_sel:[0,1]
	v_mov_b32_e32 v60, v11
	v_pk_fma_f32 v[72:73], v[26:27], v[8:9], v[24:25] op_sel:[0,0,1] op_sel_hi:[1,1,0] neg_lo:[0,0,1] neg_hi:[0,0,1]
	v_pk_fma_f32 v[68:69], v[26:27], v[8:9], v[24:25] op_sel:[0,0,1] op_sel_hi:[1,0,0]
	v_pk_mul_f32 v[24:25], v[56:57], v[60:61] op_sel_hi:[1,0]
	v_pk_fma_f32 v[76:77], v[58:59], v[4:5], v[64:65] op_sel:[0,0,1] op_sel_hi:[1,1,0] neg_lo:[0,0,1] neg_hi:[0,0,1]
	v_pk_fma_f32 v[74:75], v[56:57], v[10:11], v[24:25] op_sel:[0,0,1] op_sel_hi:[1,1,0] neg_lo:[0,0,1] neg_hi:[0,0,1]
	v_pk_fma_f32 v[56:57], v[56:57], v[10:11], v[24:25] op_sel:[0,0,1] op_sel_hi:[1,0,0]
	ds_read2_b64 v[24:27], v160 offset0:104 offset1:117
	v_pk_fma_f32 v[58:59], v[58:59], v[4:5], v[64:65] op_sel:[0,0,1] op_sel_hi:[1,0,0]
	s_waitcnt vmcnt(2)
	v_mov_b32_e32 v56, v19
	v_mov_b32_e32 v58, v7
	s_waitcnt vmcnt(0)
	v_mov_b32_e32 v68, v13
	s_waitcnt lgkmcnt(0)
	v_pk_mul_f32 v[64:65], v[24:25], v[58:59] op_sel_hi:[1,0]
	v_mov_b32_e32 v73, v69
	v_pk_fma_f32 v[78:79], v[24:25], v[6:7], v[64:65] op_sel:[0,0,1] op_sel_hi:[1,1,0] neg_lo:[0,0,1] neg_hi:[0,0,1]
	v_pk_fma_f32 v[80:81], v[24:25], v[6:7], v[64:65] op_sel:[0,0,1] op_sel_hi:[1,0,0]
	ds_read2_b64 v[64:67], v160 offset0:130 offset1:143
	v_pk_mul_f32 v[24:25], v[26:27], v[16:17] op_sel:[0,1]
	v_mov_b32_e32 v79, v81
	v_pk_fma_f32 v[82:83], v[26:27], v[16:17], v[24:25] op_sel:[0,0,1] op_sel_hi:[1,1,0] neg_lo:[0,0,1] neg_hi:[0,0,1]
	v_pk_fma_f32 v[84:85], v[26:27], v[16:17], v[24:25] op_sel:[0,0,1] op_sel_hi:[1,0,0]
	s_waitcnt lgkmcnt(0)
	v_pk_mul_f32 v[24:25], v[64:65], v[56:57] op_sel_hi:[1,0]
	v_mov_b32_e32 v83, v85
	v_pk_fma_f32 v[86:87], v[64:65], v[18:19], v[24:25] op_sel:[0,0,1] op_sel_hi:[1,0,0] neg_lo:[0,0,1] neg_hi:[0,0,1]
	v_pk_fma_f32 v[88:89], v[64:65], v[18:19], v[24:25] op_sel:[0,0,1] op_sel_hi:[1,0,0]
	ds_read2_b64 v[24:27], v160 offset1:13
	v_pk_mul_f32 v[64:65], v[66:67], v[20:21] op_sel:[0,1]
	v_mov_b32_e32 v71, v61
	v_pk_fma_f32 v[90:91], v[66:67], v[20:21], v[64:65] op_sel:[0,0,1] op_sel_hi:[1,0,0] neg_lo:[0,0,1] neg_hi:[0,0,1]
	v_pk_fma_f32 v[92:93], v[66:67], v[20:21], v[64:65] op_sel:[0,0,1] op_sel_hi:[1,0,0]
	ds_read2_b64 v[64:67], v160 offset0:26 offset1:39
	s_waitcnt lgkmcnt(1)
	v_pk_mul_f32 v[94:95], v[26:27], v[68:69]
	v_mov_b32_e32 v68, v27
	v_pk_fma_f32 v[94:95], v[68:69], v[12:13], v[94:95]
	v_mov_b32_e32 v68, v15
	s_waitcnt lgkmcnt(0)
	v_pk_mul_f32 v[96:97], v[64:65], v[68:69]
	v_mov_b32_e32 v68, v65
	v_pk_mul_f32 v[98:99], v[64:65], v[14:15]
	v_pk_fma_f32 v[96:97], v[68:69], v[14:15], v[96:97]
	v_mov_b32_e32 v68, v99
	v_pk_fma_f32 v[98:99], v[64:65], v[14:15], v[68:69] neg_lo:[0,0,1] neg_hi:[0,0,1]
	v_pk_mul_f32 v[64:65], v[66:67], v[0:1]
	v_mov_b32_e32 v3, v96
	v_mov_b32_e32 v64, v65
	v_pk_fma_f32 v[100:101], v[66:67], v[0:1], v[64:65] neg_lo:[0,0,1] neg_hi:[0,0,1]
	v_mov_b32_e32 v64, v1
	v_pk_mul_f32 v[64:65], v[66:67], v[64:65]
	v_mov_b32_e32 v66, v67
	v_pk_fma_f32 v[102:103], v[66:67], v[0:1], v[64:65]
	ds_read_b64 v[66:67], v160 offset:1248
	v_mov_b32_e32 v64, v23
	v_mov_b32_e32 v105, v93
	;; [unrolled: 1-line block ×3, first 2 shown]
	v_pk_add_f32 v[114:115], v[98:99], v[90:91]
	s_waitcnt lgkmcnt(0)
	v_pk_mul_f32 v[68:69], v[66:67], v[64:65] op_sel_hi:[1,0]
	v_pk_add_f32 v[90:91], v[98:99], v[90:91] neg_lo:[0,1] neg_hi:[0,1]
	v_pk_fma_f32 v[80:81], v[66:67], v[22:23], v[68:69] op_sel:[0,0,1] op_sel_hi:[1,0,0] neg_lo:[0,0,1] neg_hi:[0,0,1]
	v_pk_fma_f32 v[84:85], v[66:67], v[22:23], v[68:69] op_sel:[0,0,1] op_sel_hi:[1,0,0]
	v_pk_add_f32 v[66:67], v[2:3], v[92:93]
	v_mov_b32_e32 v3, v102
	v_mov_b32_e32 v66, v93
	v_pk_add_f32 v[122:123], v[96:97], v[66:67] neg_lo:[0,1] neg_hi:[0,1]
	v_mov_b32_e32 v93, v89
	v_pk_add_f32 v[68:69], v[2:3], v[88:89]
	v_mov_b32_e32 v66, v89
	v_pk_mul_f32 v[88:89], v[26:27], v[12:13]
	v_pk_add_f32 v[110:111], v[102:103], v[66:67] neg_lo:[0,1] neg_hi:[0,1]
	v_mov_b32_e32 v66, v89
	v_pk_fma_f32 v[88:89], v[26:27], v[12:13], v[66:67] neg_lo:[0,0,1] neg_hi:[0,0,1]
	v_mov_b32_e32 v26, v85
	v_mov_b32_e32 v3, v94
	;; [unrolled: 1-line block ×5, first 2 shown]
	v_pk_add_f32 v[138:139], v[94:95], v[26:27] neg_lo:[0,1] neg_hi:[0,1]
	v_pk_add_f32 v[26:27], v[2:3], v[84:85]
	v_pk_add_f32 v[140:141], v[88:89], v[80:81]
	v_pk_add_f32 v[80:81], v[88:89], v[80:81] neg_lo:[0,1] neg_hi:[0,1]
	v_pk_add_f32 v[84:85], v[24:25], v[88:89]
	v_pk_add_f32 v[88:89], v[24:25], v[2:3]
	v_mov_b32_e32 v92, v86
	v_mov_b32_e32 v85, v89
	v_pk_add_f32 v[106:107], v[100:101], v[86:87]
	v_pk_add_f32 v[86:87], v[100:101], v[86:87] neg_lo:[0,1] neg_hi:[0,1]
	v_mov_b32_e32 v101, v102
	v_pk_add_f32 v[84:85], v[84:85], v[98:99]
	v_mov_b32_e32 v75, v57
	v_pk_add_f32 v[84:85], v[84:85], v[100:101]
	;; [unrolled: 2-line block ×3, first 2 shown]
	v_pk_add_f32 v[120:121], v[74:75], v[76:77]
	v_pk_add_f32 v[84:85], v[84:85], v[72:73]
	v_pk_add_f32 v[98:99], v[74:75], v[76:77] neg_lo:[0,1] neg_hi:[0,1]
	v_pk_add_f32 v[84:85], v[84:85], v[74:75]
	v_pk_add_f32 v[132:133], v[72:73], v[78:79]
	;; [unrolled: 1-line block ×3, first 2 shown]
	v_pk_add_f32 v[94:95], v[72:73], v[78:79] neg_lo:[0,1] neg_hi:[0,1]
	v_pk_add_f32 v[72:73], v[74:75], v[78:79]
	v_pk_add_f32 v[136:137], v[70:71], v[82:83]
	v_pk_add_f32 v[84:85], v[70:71], v[82:83] neg_lo:[0,1] neg_hi:[0,1]
	v_pk_add_f32 v[70:71], v[72:73], v[82:83]
	v_mov_b32_e32 v141, v80
	v_pk_add_f32 v[70:71], v[70:71], v[92:93]
	v_mov_b32_e32 v26, v138
	v_pk_add_f32 v[70:71], v[70:71], v[104:105]
	v_pk_mul_f32 v[72:73], v[140:141], s[52:53]
	v_pk_add_f32 v[100:101], v[70:71], v[96:97]
	v_mov_b32_e32 v115, v90
	v_pk_fma_f32 v[74:75], v[138:139], s[24:25], v[72:73] neg_lo:[1,0,0] neg_hi:[1,0,0]
	v_pk_fma_f32 v[70:71], v[26:27], s[24:25], v[72:73]
	v_mov_b32_e32 v66, v122
	v_mov_b32_e32 v75, v71
	v_pk_mul_f32 v[76:77], v[114:115], s[38:39]
	v_pk_add_f32 v[78:79], v[24:25], v[74:75]
	v_pk_fma_f32 v[80:81], v[122:123], s[12:13], v[76:77] neg_lo:[1,0,0] neg_hi:[1,0,0]
	v_pk_fma_f32 v[74:75], v[66:67], s[12:13], v[76:77]
	v_mov_b32_e32 v107, v86
	v_mov_b32_e32 v81, v75
	v_pk_add_f32 v[82:83], v[80:81], v[78:79]
	v_mov_b32_e32 v68, v110
	v_pk_mul_f32 v[80:81], v[106:107], s[44:45]
	v_pk_mul_f32 v[108:109], v[114:115], s[36:37]
	v_pk_fma_f32 v[86:87], v[110:111], s[16:17], v[80:81] neg_lo:[1,0,0] neg_hi:[1,0,0]
	v_pk_fma_f32 v[78:79], v[68:69], s[16:17], v[80:81]
	v_pk_fma_f32 v[116:117], v[122:123], s[2:3], v[108:109] neg_lo:[1,0,0] neg_hi:[1,0,0]
	v_mov_b32_e32 v87, v79
	v_pk_add_f32 v[88:89], v[86:87], v[82:83]
	v_mov_b32_e32 v83, v137
	v_mov_b32_e32 v137, v84
	v_mov_b32_e32 v82, v85
	v_pk_mul_f32 v[86:87], v[136:137], s[36:37]
	v_pk_mul_f32 v[124:125], v[106:107], s[42:43]
	v_pk_fma_f32 v[90:91], v[82:83], s[2:3], v[86:87] neg_lo:[1,0,0] neg_hi:[1,0,0]
	v_pk_fma_f32 v[84:85], v[82:83], s[2:3], v[86:87]
	v_pk_fma_f32 v[118:119], v[110:111], s[18:19], v[124:125] neg_lo:[1,0,0] neg_hi:[1,0,0]
	v_mov_b32_e32 v91, v85
	v_pk_add_f32 v[96:97], v[90:91], v[88:89]
	v_mov_b32_e32 v89, v133
	v_mov_b32_e32 v133, v94
	v_mov_b32_e32 v88, v95
	v_pk_mul_f32 v[92:93], v[132:133], s[40:41]
	v_pk_mul_f32 v[128:129], v[136:137], s[50:51]
	v_pk_fma_f32 v[94:95], v[88:89], s[14:15], v[92:93] neg_lo:[1,0,0] neg_hi:[1,0,0]
	v_pk_fma_f32 v[90:91], v[88:89], s[14:15], v[92:93]
	v_pk_fma_f32 v[126:127], v[82:83], s[26:27], v[128:129] neg_lo:[1,0,0] neg_hi:[1,0,0]
	v_mov_b32_e32 v95, v91
	v_pk_add_f32 v[102:103], v[94:95], v[96:97]
	v_mov_b32_e32 v95, v121
	v_mov_b32_e32 v121, v98
	v_mov_b32_e32 v94, v99
	v_pk_mul_f32 v[98:99], v[120:121], s[42:43]
	v_pk_mul_f32 v[130:131], v[132:133], s[46:47]
	v_pk_fma_f32 v[104:105], v[94:95], s[18:19], v[98:99] neg_lo:[1,0,0] neg_hi:[1,0,0]
	v_pk_fma_f32 v[96:97], v[94:95], s[18:19], v[98:99]
	v_pk_fma_f32 v[134:135], v[88:89], s[20:21], v[130:131] neg_lo:[1,0,0] neg_hi:[1,0,0]
	v_mov_b32_e32 v105, v97
	v_pk_add_f32 v[102:103], v[104:105], v[102:103]
	v_pk_mul_f32 v[104:105], v[140:141], s[38:39]
	ds_write2_b64 v160, v[100:101], v[102:103] offset1:13
	v_pk_fma_f32 v[112:113], v[138:139], s[12:13], v[104:105] neg_lo:[1,0,0] neg_hi:[1,0,0]
	v_pk_fma_f32 v[100:101], v[26:27], s[12:13], v[104:105]
	v_pk_fma_f32 v[102:103], v[66:67], s[2:3], v[108:109]
	v_mov_b32_e32 v113, v101
	v_mov_b32_e32 v117, v103
	v_pk_add_f32 v[112:113], v[24:25], v[112:113]
	v_pk_mul_f32 v[146:147], v[140:141], s[44:45]
	v_pk_add_f32 v[116:117], v[116:117], v[112:113]
	v_pk_fma_f32 v[112:113], v[68:69], s[18:19], v[124:125]
	v_pk_fma_f32 v[150:151], v[138:139], s[16:17], v[146:147] neg_lo:[1,0,0] neg_hi:[1,0,0]
	v_mov_b32_e32 v119, v113
	v_pk_add_f32 v[118:119], v[118:119], v[116:117]
	v_pk_fma_f32 v[116:117], v[82:83], s[26:27], v[128:129]
	v_pk_mul_f32 v[148:149], v[114:115], s[42:43]
	v_mov_b32_e32 v127, v117
	v_pk_add_f32 v[126:127], v[126:127], v[118:119]
	v_pk_fma_f32 v[118:119], v[88:89], s[20:21], v[130:131]
	v_pk_fma_f32 v[152:153], v[122:123], s[18:19], v[148:149] neg_lo:[1,0,0] neg_hi:[1,0,0]
	v_mov_b32_e32 v135, v119
	v_pk_add_f32 v[142:143], v[134:135], v[126:127]
	v_pk_mul_f32 v[134:135], v[120:121], s[48:49]
	v_pk_mul_f32 v[156:157], v[106:107], s[58:59]
	v_pk_fma_f32 v[144:145], v[94:95], s[22:23], v[134:135] neg_lo:[1,0,0] neg_hi:[1,0,0]
	v_pk_fma_f32 v[126:127], v[94:95], s[22:23], v[134:135]
	v_pk_fma_f32 v[154:155], v[110:111], s[30:31], v[156:157] neg_lo:[1,0,0] neg_hi:[1,0,0]
	v_mov_b32_e32 v145, v127
	v_pk_add_f32 v[164:165], v[144:145], v[142:143]
	v_pk_fma_f32 v[142:143], v[26:27], s[16:17], v[146:147]
	v_pk_fma_f32 v[144:145], v[66:67], s[18:19], v[148:149]
	v_mov_b32_e32 v151, v143
	v_mov_b32_e32 v153, v145
	v_pk_add_f32 v[150:151], v[24:25], v[150:151]
	v_pk_mul_f32 v[166:167], v[136:137], s[48:49]
	v_pk_add_f32 v[152:153], v[152:153], v[150:151]
	v_pk_fma_f32 v[150:151], v[68:69], s[30:31], v[156:157]
	v_pk_fma_f32 v[158:159], v[82:83], s[22:23], v[166:167] neg_lo:[1,0,0] neg_hi:[1,0,0]
	v_mov_b32_e32 v155, v151
	v_pk_add_f32 v[154:155], v[154:155], v[152:153]
	v_pk_fma_f32 v[152:153], v[82:83], s[22:23], v[166:167]
	v_pk_mul_f32 v[168:169], v[132:133], s[38:39]
	v_mov_b32_e32 v159, v153
	v_pk_add_f32 v[158:159], v[158:159], v[154:155]
	v_pk_fma_f32 v[170:171], v[88:89], s[12:13], v[168:169] neg_lo:[1,0,0] neg_hi:[1,0,0]
	v_pk_fma_f32 v[154:155], v[88:89], s[12:13], v[168:169]
	v_pk_mul_f32 v[172:173], v[120:121], s[40:41]
	v_mov_b32_e32 v171, v155
	v_pk_add_f32 v[170:171], v[170:171], v[158:159]
	v_pk_fma_f32 v[174:175], v[94:95], s[14:15], v[172:173] neg_lo:[1,0,0] neg_hi:[1,0,0]
	v_pk_fma_f32 v[158:159], v[94:95], s[14:15], v[172:173]
	v_pk_mul_f32 v[176:177], v[114:115], s[50:51]
	v_mov_b32_e32 v175, v159
	v_pk_add_f32 v[170:171], v[174:175], v[170:171]
	ds_write2_b64 v160, v[164:165], v[170:171] offset0:26 offset1:39
	v_pk_mul_f32 v[164:165], v[140:141], s[36:37]
	v_pk_fma_f32 v[178:179], v[122:123], s[26:27], v[176:177] neg_lo:[1,0,0] neg_hi:[1,0,0]
	v_pk_fma_f32 v[170:171], v[138:139], s[2:3], v[164:165] neg_lo:[1,0,0] neg_hi:[1,0,0]
	v_pk_fma_f32 v[174:175], v[26:27], s[2:3], v[164:165]
	v_pk_fma_f32 v[180:181], v[66:67], s[26:27], v[176:177]
	v_mov_b32_e32 v171, v175
	v_mov_b32_e32 v179, v181
	v_pk_add_f32 v[170:171], v[24:25], v[170:171]
	v_pk_mul_f32 v[202:203], v[114:115], s[46:47]
	v_pk_add_f32 v[170:171], v[178:179], v[170:171]
	v_pk_mul_f32 v[178:179], v[106:107], s[48:49]
	v_pk_fma_f32 v[204:205], v[122:123], s[20:21], v[202:203] neg_lo:[1,0,0] neg_hi:[1,0,0]
	v_pk_fma_f32 v[182:183], v[110:111], s[22:23], v[178:179] neg_lo:[1,0,0] neg_hi:[1,0,0]
	v_pk_fma_f32 v[184:185], v[68:69], s[22:23], v[178:179]
	v_pk_fma_f32 v[206:207], v[66:67], s[20:21], v[202:203]
	v_mov_b32_e32 v183, v185
	v_pk_add_f32 v[170:171], v[182:183], v[170:171]
	v_pk_mul_f32 v[182:183], v[136:137], s[44:45]
	v_mov_b32_e32 v205, v207
	v_pk_fma_f32 v[186:187], v[82:83], s[16:17], v[182:183] neg_lo:[1,0,0] neg_hi:[1,0,0]
	v_pk_fma_f32 v[188:189], v[82:83], s[16:17], v[182:183]
	v_pk_mul_f32 v[114:115], v[114:115], s[48:49]
	v_mov_b32_e32 v187, v189
	v_pk_add_f32 v[170:171], v[186:187], v[170:171]
	v_pk_mul_f32 v[186:187], v[132:133], s[56:57]
	v_pk_fma_f32 v[122:123], v[122:123], s[22:23], v[114:115] neg_lo:[1,0,0] neg_hi:[1,0,0]
	v_pk_fma_f32 v[190:191], v[88:89], s[34:35], v[186:187] neg_lo:[1,0,0] neg_hi:[1,0,0]
	v_pk_fma_f32 v[192:193], v[88:89], s[34:35], v[186:187]
	v_pk_fma_f32 v[104:105], v[26:27], s[12:13], v[104:105] neg_lo:[0,0,1] neg_hi:[0,0,1]
	v_mov_b32_e32 v191, v193
	v_pk_add_f32 v[170:171], v[190:191], v[170:171]
	v_pk_mul_f32 v[190:191], v[120:121], s[54:55]
	v_mov_b32_e32 v101, v105
	v_pk_fma_f32 v[194:195], v[94:95], s[28:29], v[190:191] neg_lo:[1,0,0] neg_hi:[1,0,0]
	v_pk_fma_f32 v[196:197], v[94:95], s[28:29], v[190:191]
	v_pk_fma_f32 v[104:105], v[66:67], s[2:3], v[108:109] neg_lo:[0,0,1] neg_hi:[0,0,1]
	v_mov_b32_e32 v195, v197
	v_pk_add_f32 v[170:171], v[194:195], v[170:171]
	v_pk_mul_f32 v[194:195], v[140:141], s[40:41]
	v_pk_mul_f32 v[140:141], v[140:141], s[42:43]
	v_pk_fma_f32 v[198:199], v[138:139], s[14:15], v[194:195] neg_lo:[1,0,0] neg_hi:[1,0,0]
	v_pk_fma_f32 v[200:201], v[26:27], s[14:15], v[194:195]
	v_pk_fma_f32 v[138:139], v[138:139], s[18:19], v[140:141] neg_lo:[1,0,0] neg_hi:[1,0,0]
	v_mov_b32_e32 v199, v201
	v_pk_add_f32 v[198:199], v[24:25], v[198:199]
	v_mov_b32_e32 v103, v105
	v_pk_add_f32 v[198:199], v[204:205], v[198:199]
	v_pk_mul_f32 v[204:205], v[106:107], s[38:39]
	v_pk_mul_f32 v[106:107], v[106:107], s[40:41]
	v_pk_fma_f32 v[208:209], v[110:111], s[12:13], v[204:205] neg_lo:[1,0,0] neg_hi:[1,0,0]
	v_pk_fma_f32 v[210:211], v[68:69], s[12:13], v[204:205]
	v_pk_fma_f32 v[110:111], v[110:111], s[14:15], v[106:107] neg_lo:[1,0,0] neg_hi:[1,0,0]
	v_mov_b32_e32 v209, v211
	v_pk_add_f32 v[198:199], v[208:209], v[198:199]
	v_pk_mul_f32 v[208:209], v[136:137], s[56:57]
	v_pk_fma_f32 v[104:105], v[68:69], s[18:19], v[124:125] neg_lo:[0,0,1] neg_hi:[0,0,1]
	v_pk_fma_f32 v[212:213], v[82:83], s[34:35], v[208:209] neg_lo:[1,0,0] neg_hi:[1,0,0]
	v_pk_fma_f32 v[214:215], v[82:83], s[34:35], v[208:209]
	v_pk_add_f32 v[100:101], v[24:25], v[100:101]
	v_mov_b32_e32 v213, v215
	v_pk_add_f32 v[198:199], v[212:213], v[198:199]
	v_pk_mul_f32 v[212:213], v[132:133], s[48:49]
	v_pk_mul_f32 v[132:133], v[132:133], s[36:37]
	v_pk_fma_f32 v[216:217], v[88:89], s[22:23], v[212:213] neg_lo:[1,0,0] neg_hi:[1,0,0]
	v_pk_fma_f32 v[218:219], v[88:89], s[22:23], v[212:213]
	v_pk_fma_f32 v[224:225], v[88:89], s[2:3], v[132:133]
	v_mov_b32_e32 v217, v219
	v_pk_add_f32 v[198:199], v[216:217], v[198:199]
	v_pk_mul_f32 v[216:217], v[120:121], s[36:37]
	v_pk_mul_f32 v[120:121], v[120:121], s[46:47]
	v_pk_fma_f32 v[220:221], v[94:95], s[2:3], v[216:217] neg_lo:[1,0,0] neg_hi:[1,0,0]
	v_pk_fma_f32 v[222:223], v[94:95], s[2:3], v[216:217]
	v_pk_fma_f32 v[226:227], v[94:95], s[20:21], v[120:121]
	v_mov_b32_e32 v221, v223
	v_pk_add_f32 v[198:199], v[220:221], v[198:199]
	ds_write2_b64 v160, v[170:171], v[198:199] offset0:52 offset1:65
	v_pk_fma_f32 v[170:171], v[26:27], s[18:19], v[140:141]
	v_pk_fma_f32 v[198:199], v[66:67], s[22:23], v[114:115]
	v_mov_b32_e32 v139, v171
	v_mov_b32_e32 v123, v199
	v_pk_add_f32 v[138:139], v[24:25], v[138:139]
	v_pk_fma_f32 v[114:115], v[66:67], s[22:23], v[114:115] neg_lo:[0,0,1] neg_hi:[0,0,1]
	v_pk_add_f32 v[122:123], v[122:123], v[138:139]
	v_pk_fma_f32 v[138:139], v[68:69], s[14:15], v[106:107]
	v_pk_fma_f32 v[106:107], v[68:69], s[14:15], v[106:107] neg_lo:[0,0,1] neg_hi:[0,0,1]
	v_mov_b32_e32 v111, v139
	v_pk_add_f32 v[110:111], v[110:111], v[122:123]
	v_pk_mul_f32 v[122:123], v[136:137], s[54:55]
	v_mov_b32_e32 v139, v107
	v_pk_fma_f32 v[136:137], v[82:83], s[28:29], v[122:123] neg_lo:[1,0,0] neg_hi:[1,0,0]
	v_pk_fma_f32 v[220:221], v[82:83], s[28:29], v[122:123]
	v_pk_fma_f32 v[106:107], v[82:83], s[28:29], v[122:123] neg_lo:[0,0,1] neg_hi:[0,0,1]
	v_mov_b32_e32 v137, v221
	v_pk_add_f32 v[110:111], v[136:137], v[110:111]
	v_pk_fma_f32 v[136:137], v[88:89], s[2:3], v[132:133] neg_lo:[1,0,0] neg_hi:[1,0,0]
	v_mov_b32_e32 v221, v107
	v_mov_b32_e32 v137, v225
	v_pk_add_f32 v[110:111], v[136:137], v[110:111]
	v_pk_fma_f32 v[136:137], v[94:95], s[20:21], v[120:121] neg_lo:[1,0,0] neg_hi:[1,0,0]
	v_pk_fma_f32 v[106:107], v[88:89], s[2:3], v[132:133] neg_lo:[0,0,1] neg_hi:[0,0,1]
	v_mov_b32_e32 v137, v227
	v_pk_add_f32 v[110:111], v[136:137], v[110:111]
	v_pk_fma_f32 v[136:137], v[26:27], s[18:19], v[140:141] neg_lo:[0,0,1] neg_hi:[0,0,1]
	v_mov_b32_e32 v225, v107
	v_mov_b32_e32 v171, v137
	v_pk_fma_f32 v[106:107], v[94:95], s[20:21], v[120:121] neg_lo:[0,0,1] neg_hi:[0,0,1]
	v_mov_b32_e32 v199, v115
	v_mov_b32_e32 v227, v107
	v_pk_add_f32 v[106:107], v[24:25], v[170:171]
	v_mov_b32_e32 v113, v105
	v_pk_add_f32 v[106:107], v[198:199], v[106:107]
	v_pk_fma_f32 v[104:105], v[82:83], s[26:27], v[128:129] neg_lo:[0,0,1] neg_hi:[0,0,1]
	v_pk_add_f32 v[106:107], v[138:139], v[106:107]
	v_pk_add_f32 v[100:101], v[102:103], v[100:101]
	;; [unrolled: 1-line block ×3, first 2 shown]
	v_mov_b32_e32 v117, v105
	v_pk_add_f32 v[106:107], v[224:225], v[106:107]
	v_pk_fma_f32 v[104:105], v[88:89], s[20:21], v[130:131] neg_lo:[0,0,1] neg_hi:[0,0,1]
	v_pk_add_f32 v[106:107], v[226:227], v[106:107]
	ds_write2_b64 v160, v[110:111], v[106:107] offset0:78 offset1:91
	v_pk_fma_f32 v[106:107], v[26:27], s[14:15], v[194:195] neg_lo:[0,0,1] neg_hi:[0,0,1]
	v_pk_fma_f32 v[110:111], v[26:27], s[2:3], v[164:165] neg_lo:[0,0,1] neg_hi:[0,0,1]
	v_mov_b32_e32 v201, v107
	v_pk_fma_f32 v[106:107], v[66:67], s[20:21], v[202:203] neg_lo:[0,0,1] neg_hi:[0,0,1]
	v_mov_b32_e32 v175, v111
	;; [unrolled: 2-line block ×11, first 2 shown]
	v_pk_add_f32 v[106:107], v[24:25], v[200:201]
	v_mov_b32_e32 v197, v111
	v_pk_add_f32 v[110:111], v[24:25], v[174:175]
	v_pk_add_f32 v[106:107], v[206:207], v[106:107]
	;; [unrolled: 1-line block ×11, first 2 shown]
	ds_write2_b64 v160, v[106:107], v[110:111] offset0:104 offset1:117
	v_pk_fma_f32 v[106:107], v[26:27], s[16:17], v[146:147] neg_lo:[0,0,1] neg_hi:[0,0,1]
	v_pk_fma_f32 v[26:27], v[26:27], s[24:25], v[72:73] neg_lo:[0,0,1] neg_hi:[0,0,1]
	v_mov_b32_e32 v143, v107
	v_pk_fma_f32 v[106:107], v[66:67], s[18:19], v[148:149] neg_lo:[0,0,1] neg_hi:[0,0,1]
	v_mov_b32_e32 v71, v27
	v_mov_b32_e32 v145, v107
	v_pk_fma_f32 v[106:107], v[68:69], s[30:31], v[156:157] neg_lo:[0,0,1] neg_hi:[0,0,1]
	v_pk_fma_f32 v[26:27], v[66:67], s[12:13], v[76:77] neg_lo:[0,0,1] neg_hi:[0,0,1]
	v_mov_b32_e32 v151, v107
	v_pk_fma_f32 v[106:107], v[82:83], s[22:23], v[166:167] neg_lo:[0,0,1] neg_hi:[0,0,1]
	v_mov_b32_e32 v75, v27
	v_mov_b32_e32 v153, v107
	v_pk_fma_f32 v[106:107], v[88:89], s[12:13], v[168:169] neg_lo:[0,0,1] neg_hi:[0,0,1]
	v_pk_fma_f32 v[26:27], v[68:69], s[16:17], v[80:81] neg_lo:[0,0,1] neg_hi:[0,0,1]
	v_mov_b32_e32 v155, v107
	v_pk_fma_f32 v[106:107], v[94:95], s[14:15], v[172:173] neg_lo:[0,0,1] neg_hi:[0,0,1]
	v_mov_b32_e32 v79, v27
	v_mov_b32_e32 v159, v107
	v_pk_add_f32 v[106:107], v[24:25], v[142:143]
	v_pk_add_f32 v[24:25], v[24:25], v[70:71]
	;; [unrolled: 1-line block ×4, first 2 shown]
	v_pk_fma_f32 v[26:27], v[82:83], s[2:3], v[86:87] neg_lo:[0,0,1] neg_hi:[0,0,1]
	v_pk_add_f32 v[106:107], v[150:151], v[106:107]
	v_pk_add_f32 v[100:101], v[112:113], v[100:101]
	;; [unrolled: 1-line block ×3, first 2 shown]
	v_mov_b32_e32 v85, v27
	v_pk_fma_f32 v[26:27], v[88:89], s[14:15], v[92:93] neg_lo:[0,0,1] neg_hi:[0,0,1]
	v_pk_add_f32 v[106:107], v[152:153], v[106:107]
	v_mov_b32_e32 v119, v105
	v_pk_fma_f32 v[104:105], v[94:95], s[22:23], v[134:135] neg_lo:[0,0,1] neg_hi:[0,0,1]
	v_pk_add_f32 v[100:101], v[116:117], v[100:101]
	v_pk_add_f32 v[24:25], v[84:85], v[24:25]
	v_mov_b32_e32 v91, v27
	v_pk_fma_f32 v[26:27], v[94:95], s[18:19], v[98:99] neg_lo:[0,0,1] neg_hi:[0,0,1]
	v_pk_add_f32 v[106:107], v[154:155], v[106:107]
	v_mov_b32_e32 v127, v105
	v_pk_add_f32 v[100:101], v[118:119], v[100:101]
	v_pk_add_f32 v[24:25], v[90:91], v[24:25]
	v_mov_b32_e32 v97, v27
	v_pk_add_f32 v[106:107], v[158:159], v[106:107]
	v_pk_add_f32 v[100:101], v[126:127], v[100:101]
	;; [unrolled: 1-line block ×3, first 2 shown]
	ds_write2_b64 v160, v[106:107], v[100:101] offset0:130 offset1:143
	ds_write_b64 v160, v[24:25] offset:1248
	s_waitcnt lgkmcnt(0)
	s_barrier
	global_load_dwordx2 v[66:67], v163, s[8:9] offset:1352
	s_add_u32 s8, s8, 0x548
	s_addc_u32 s9, s9, 0
	global_load_dwordx2 v[70:71], v163, s[8:9] offset:104
	global_load_dwordx2 v[72:73], v163, s[8:9] offset:208
	;; [unrolled: 1-line block ×12, first 2 shown]
	ds_read2_b64 v[24:27], v160 offset1:13
	s_mov_b32 s36, s25
	s_mov_b32 s8, s17
	;; [unrolled: 1-line block ×3, first 2 shown]
	s_waitcnt vmcnt(11) lgkmcnt(0)
	v_mul_f32_e32 v97, v26, v71
	v_fmac_f32_e32 v97, v27, v70
	v_mul_f32_e32 v3, v25, v67
	v_mul_f32_e32 v95, v24, v67
	v_fma_f32 v94, v24, v66, -v3
	v_fmac_f32_e32 v95, v25, v66
	ds_read2_b64 v[66:69], v160 offset0:26 offset1:39
	v_mul_f32_e32 v3, v27, v71
	v_fma_f32 v96, v26, v70, -v3
	ds_read2_b64 v[24:27], v160 offset0:52 offset1:65
	s_waitcnt vmcnt(10) lgkmcnt(1)
	v_mul_f32_e32 v3, v67, v73
	v_fma_f32 v70, v66, v72, -v3
	v_mul_f32_e32 v71, v66, v73
	s_waitcnt vmcnt(9)
	v_mul_f32_e32 v3, v69, v75
	v_mul_f32_e32 v73, v68, v75
	v_fmac_f32_e32 v71, v67, v72
	v_fma_f32 v72, v68, v74, -v3
	v_fmac_f32_e32 v73, v69, v74
	ds_read2_b64 v[66:69], v160 offset0:78 offset1:91
	s_waitcnt vmcnt(8) lgkmcnt(1)
	v_mul_f32_e32 v3, v25, v77
	v_fma_f32 v74, v24, v76, -v3
	v_mul_f32_e32 v75, v24, v77
	s_waitcnt vmcnt(7)
	v_mul_f32_e32 v3, v27, v79
	v_mul_f32_e32 v77, v26, v79
	v_fmac_f32_e32 v75, v25, v76
	v_fma_f32 v76, v26, v78, -v3
	v_fmac_f32_e32 v77, v27, v78
	s_waitcnt vmcnt(6) lgkmcnt(0)
	v_mul_f32_e32 v3, v67, v81
	ds_read2_b64 v[24:27], v160 offset0:104 offset1:117
	v_fma_f32 v78, v66, v80, -v3
	v_mul_f32_e32 v79, v66, v81
	s_waitcnt vmcnt(5)
	v_mul_f32_e32 v3, v69, v83
	v_mul_f32_e32 v81, v68, v83
	v_fmac_f32_e32 v79, v67, v80
	v_fma_f32 v80, v68, v82, -v3
	v_fmac_f32_e32 v81, v69, v82
	ds_read2_b64 v[66:69], v160 offset0:130 offset1:143
	s_waitcnt vmcnt(4) lgkmcnt(1)
	v_mul_f32_e32 v3, v25, v85
	v_mul_f32_e32 v83, v24, v85
	v_fma_f32 v82, v24, v84, -v3
	v_fmac_f32_e32 v83, v25, v84
	s_waitcnt vmcnt(3)
	v_mul_f32_e32 v3, v27, v87
	v_mul_f32_e32 v25, v26, v87
	v_fma_f32 v24, v26, v86, -v3
	v_fmac_f32_e32 v25, v27, v86
	s_waitcnt vmcnt(2) lgkmcnt(0)
	v_mul_f32_e32 v3, v67, v89
	v_mul_f32_e32 v27, v66, v89
	v_fma_f32 v26, v66, v88, -v3
	v_fmac_f32_e32 v27, v67, v88
	s_waitcnt vmcnt(1)
	v_mul_f32_e32 v3, v69, v91
	v_mul_f32_e32 v67, v68, v91
	ds_write2_b64 v160, v[94:95], v[96:97] offset1:13
	ds_write2_b64 v160, v[70:71], v[72:73] offset0:26 offset1:39
	v_fma_f32 v66, v68, v90, -v3
	v_fmac_f32_e32 v67, v69, v90
	ds_read_b64 v[68:69], v160 offset:1248
	ds_write2_b64 v160, v[74:75], v[76:77] offset0:52 offset1:65
	ds_write2_b64 v160, v[78:79], v[80:81] offset0:78 offset1:91
	;; [unrolled: 1-line block ×4, first 2 shown]
	s_waitcnt vmcnt(0) lgkmcnt(4)
	v_mul_f32_e32 v3, v69, v93
	v_mul_f32_e32 v25, v68, v93
	v_fma_f32 v24, v68, v92, -v3
	v_fmac_f32_e32 v25, v69, v92
	ds_write_b64 v160, v[24:25] offset:1248
	s_waitcnt lgkmcnt(0)
	s_barrier
	ds_read2_b64 v[24:27], v160 offset1:13
	ds_read2_b64 v[66:69], v160 offset0:26 offset1:39
	ds_read2_b64 v[70:73], v160 offset0:52 offset1:65
	;; [unrolled: 1-line block ×4, first 2 shown]
	s_waitcnt lgkmcnt(4)
	v_pk_add_f32 v[78:79], v[24:25], v[26:27]
	s_waitcnt lgkmcnt(1)
	v_pk_add_f32 v[108:109], v[76:77], v[70:71]
	v_pk_add_f32 v[78:79], v[78:79], v[66:67]
	v_pk_add_f32 v[118:119], v[70:71], v[76:77] neg_lo:[0,1] neg_hi:[0,1]
	v_pk_add_f32 v[78:79], v[78:79], v[68:69]
	v_pk_add_f32 v[114:115], v[74:75], v[72:73]
	;; [unrolled: 1-line block ×3, first 2 shown]
	v_pk_add_f32 v[116:117], v[72:73], v[74:75] neg_lo:[0,1] neg_hi:[0,1]
	v_pk_add_f32 v[78:79], v[78:79], v[72:73]
	ds_read2_b64 v[70:73], v160 offset0:130 offset1:143
	s_waitcnt lgkmcnt(1)
	v_pk_add_f32 v[78:79], v[78:79], v[84:85]
	v_pk_add_f32 v[134:135], v[84:85], v[86:87] neg_lo:[0,1] neg_hi:[0,1]
	v_pk_add_f32 v[78:79], v[78:79], v[86:87]
	v_pk_add_f32 v[132:133], v[86:87], v[84:85]
	s_waitcnt lgkmcnt(0)
	v_pk_add_f32 v[120:121], v[72:73], v[66:67]
	v_pk_add_f32 v[122:123], v[66:67], v[72:73] neg_lo:[0,1] neg_hi:[0,1]
	ds_read_b64 v[66:67], v160 offset:1248
	v_pk_add_f32 v[74:75], v[78:79], v[74:75]
	v_pk_add_f32 v[124:125], v[70:71], v[68:69]
	;; [unrolled: 1-line block ×3, first 2 shown]
	v_pk_add_f32 v[126:127], v[68:69], v[70:71] neg_lo:[0,1] neg_hi:[0,1]
	v_pk_add_f32 v[68:69], v[74:75], v[70:71]
	s_waitcnt lgkmcnt(0)
	v_pk_add_f32 v[130:131], v[26:27], v[66:67] neg_lo:[0,1] neg_hi:[0,1]
	v_pk_add_f32 v[68:69], v[68:69], v[72:73]
	v_pk_add_f32 v[128:129], v[66:67], v[26:27]
	;; [unrolled: 1-line block ×3, first 2 shown]
	v_pk_mul_f32 v[66:67], v[130:131], s[24:25] op_sel_hi:[1,0]
	v_pk_mul_f32 v[70:71], v[122:123], s[12:13] op_sel_hi:[1,0]
	v_pk_fma_f32 v[26:27], v[128:129], s[36:37], v[66:67] op_sel:[0,0,1] op_sel_hi:[1,0,0]
	v_pk_fma_f32 v[66:67], v[128:129], s[36:37], v[66:67] op_sel:[0,0,1] op_sel_hi:[1,0,0] neg_lo:[0,0,1] neg_hi:[0,0,1]
	v_mov_b32_e32 v68, v26
	v_mov_b32_e32 v69, v67
	v_pk_add_f32 v[72:73], v[24:25], v[68:69]
	v_pk_fma_f32 v[68:69], v[120:121], s[10:11], v[70:71] op_sel:[0,0,1] op_sel_hi:[1,0,0]
	v_pk_fma_f32 v[70:71], v[120:121], s[10:11], v[70:71] op_sel:[0,0,1] op_sel_hi:[1,0,0] neg_lo:[0,0,1] neg_hi:[0,0,1]
	v_mov_b32_e32 v74, v68
	v_mov_b32_e32 v75, v71
	v_pk_add_f32 v[76:77], v[74:75], v[72:73]
	v_pk_mul_f32 v[74:75], v[126:127], s[16:17] op_sel_hi:[1,0]
	v_pk_mul_f32 v[86:87], v[134:135], s[18:19] op_sel_hi:[1,0]
	v_pk_fma_f32 v[72:73], v[124:125], s[8:9], v[74:75] op_sel:[0,0,1] op_sel_hi:[1,0,0]
	v_pk_fma_f32 v[74:75], v[124:125], s[8:9], v[74:75] op_sel:[0,0,1] op_sel_hi:[1,0,0] neg_lo:[0,0,1] neg_hi:[0,0,1]
	v_mov_b32_e32 v78, v72
	v_mov_b32_e32 v79, v75
	v_pk_add_f32 v[80:81], v[78:79], v[76:77]
	v_pk_mul_f32 v[78:79], v[118:119], s[2:3] op_sel_hi:[1,0]
	v_pk_fma_f32 v[84:85], v[132:133], s[42:43], v[86:87] op_sel:[0,0,1] op_sel_hi:[1,0,0]
	v_pk_fma_f32 v[76:77], v[108:109], s[38:39], v[78:79] op_sel:[0,0,1] op_sel_hi:[1,0,0]
	v_pk_fma_f32 v[78:79], v[108:109], s[38:39], v[78:79] op_sel:[0,0,1] op_sel_hi:[1,0,0] neg_lo:[0,0,1] neg_hi:[0,0,1]
	v_mov_b32_e32 v82, v76
	v_mov_b32_e32 v83, v79
	v_pk_add_f32 v[90:91], v[82:83], v[80:81]
	v_pk_mul_f32 v[82:83], v[116:117], s[14:15] op_sel_hi:[1,0]
	v_pk_fma_f32 v[86:87], v[132:133], s[42:43], v[86:87] op_sel:[0,0,1] op_sel_hi:[1,0,0] neg_lo:[0,0,1] neg_hi:[0,0,1]
	v_pk_fma_f32 v[80:81], v[114:115], s[40:41], v[82:83] op_sel:[0,0,1] op_sel_hi:[1,0,0]
	v_pk_fma_f32 v[82:83], v[114:115], s[40:41], v[82:83] op_sel:[0,0,1] op_sel_hi:[1,0,0] neg_lo:[0,0,1] neg_hi:[0,0,1]
	v_mov_b32_e32 v92, v80
	v_mov_b32_e32 v93, v83
	v_pk_add_f32 v[90:91], v[92:93], v[90:91]
	v_mov_b32_e32 v92, v84
	v_mov_b32_e32 v93, v87
	v_pk_add_f32 v[90:91], v[92:93], v[90:91]
	s_barrier
	ds_write2_b64 v162, v[88:89], v[90:91] offset1:1
	v_pk_mul_f32 v[88:89], v[130:131], s[12:13] op_sel_hi:[1,0]
	v_pk_mul_f32 v[144:145], v[122:123], s[18:19] op_sel_hi:[1,0]
	v_pk_fma_f32 v[90:91], v[128:129], s[10:11], v[88:89] op_sel:[0,0,1] op_sel_hi:[1,0,0]
	v_pk_fma_f32 v[88:89], v[128:129], s[10:11], v[88:89] op_sel:[0,0,1] op_sel_hi:[1,0,0] neg_lo:[0,0,1] neg_hi:[0,0,1]
	v_mov_b32_e32 v92, v90
	v_mov_b32_e32 v93, v89
	v_pk_add_f32 v[96:97], v[24:25], v[92:93]
	v_pk_mul_f32 v[92:93], v[122:123], s[2:3] op_sel_hi:[1,0]
	v_pk_fma_f32 v[146:147], v[120:121], s[42:43], v[144:145] op_sel:[0,0,1] op_sel_hi:[1,0,0]
	v_pk_fma_f32 v[94:95], v[120:121], s[38:39], v[92:93] op_sel:[0,0,1] op_sel_hi:[1,0,0]
	v_pk_fma_f32 v[92:93], v[120:121], s[38:39], v[92:93] op_sel:[0,0,1] op_sel_hi:[1,0,0] neg_lo:[0,0,1] neg_hi:[0,0,1]
	v_mov_b32_e32 v98, v94
	v_mov_b32_e32 v99, v93
	v_pk_add_f32 v[100:101], v[98:99], v[96:97]
	v_pk_mul_f32 v[98:99], v[126:127], s[18:19] op_sel_hi:[1,0]
	v_pk_fma_f32 v[144:145], v[120:121], s[42:43], v[144:145] op_sel:[0,0,1] op_sel_hi:[1,0,0] neg_lo:[0,0,1] neg_hi:[0,0,1]
	v_pk_fma_f32 v[96:97], v[124:125], s[42:43], v[98:99] op_sel:[0,0,1] op_sel_hi:[1,0,0]
	v_pk_fma_f32 v[98:99], v[124:125], s[42:43], v[98:99] op_sel:[0,0,1] op_sel_hi:[1,0,0] neg_lo:[0,0,1] neg_hi:[0,0,1]
	v_mov_b32_e32 v102, v96
	v_mov_b32_e32 v103, v99
	v_pk_add_f32 v[104:105], v[102:103], v[100:101]
	v_pk_mul_f32 v[102:103], v[118:119], s[26:27] op_sel_hi:[1,0]
	v_mov_b32_e32 v148, v146
	v_pk_fma_f32 v[100:101], v[108:109], s[40:41], v[102:103] op_sel:[0,0,1] op_sel_hi:[1,0,0]
	v_pk_fma_f32 v[102:103], v[108:109], s[40:41], v[102:103] op_sel:[0,0,1] op_sel_hi:[1,0,0] neg_lo:[0,0,1] neg_hi:[0,0,1]
	v_mov_b32_e32 v106, v100
	v_mov_b32_e32 v107, v103
	v_pk_add_f32 v[110:111], v[106:107], v[104:105]
	v_pk_mul_f32 v[106:107], v[116:117], s[20:21] op_sel_hi:[1,0]
	v_mov_b32_e32 v149, v145
	v_pk_fma_f32 v[104:105], v[114:115], s[8:9], v[106:107] op_sel:[0,0,1] op_sel_hi:[1,0,0]
	v_pk_fma_f32 v[106:107], v[114:115], s[8:9], v[106:107] op_sel:[0,0,1] op_sel_hi:[1,0,0] neg_lo:[0,0,1] neg_hi:[0,0,1]
	v_mov_b32_e32 v112, v104
	v_mov_b32_e32 v113, v107
	v_pk_add_f32 v[136:137], v[112:113], v[110:111]
	v_pk_mul_f32 v[112:113], v[134:135], s[22:23] op_sel_hi:[1,0]
	v_pk_mul_f32 v[170:171], v[122:123], s[26:27] op_sel_hi:[1,0]
	v_pk_fma_f32 v[110:111], v[132:133], s[36:37], v[112:113] op_sel:[0,0,1] op_sel_hi:[1,0,0]
	v_pk_fma_f32 v[112:113], v[132:133], s[36:37], v[112:113] op_sel:[0,0,1] op_sel_hi:[1,0,0] neg_lo:[0,0,1] neg_hi:[0,0,1]
	v_mov_b32_e32 v138, v110
	v_mov_b32_e32 v139, v113
	v_pk_add_f32 v[136:137], v[138:139], v[136:137]
	v_pk_mul_f32 v[138:139], v[130:131], s[16:17] op_sel_hi:[1,0]
	v_pk_fma_f32 v[172:173], v[120:121], s[40:41], v[170:171] op_sel:[0,0,1] op_sel_hi:[1,0,0]
	v_pk_fma_f32 v[140:141], v[128:129], s[8:9], v[138:139] op_sel:[0,0,1] op_sel_hi:[1,0,0]
	v_pk_fma_f32 v[138:139], v[128:129], s[8:9], v[138:139] op_sel:[0,0,1] op_sel_hi:[1,0,0] neg_lo:[0,0,1] neg_hi:[0,0,1]
	v_mov_b32_e32 v142, v140
	v_mov_b32_e32 v143, v139
	v_pk_add_f32 v[142:143], v[24:25], v[142:143]
	v_pk_fma_f32 v[170:171], v[120:121], s[40:41], v[170:171] op_sel:[0,0,1] op_sel_hi:[1,0,0] neg_lo:[0,0,1] neg_hi:[0,0,1]
	v_pk_add_f32 v[142:143], v[148:149], v[142:143]
	v_pk_mul_f32 v[148:149], v[126:127], s[30:31] op_sel_hi:[1,0]
	v_mov_b32_e32 v174, v172
	v_pk_fma_f32 v[150:151], v[124:125], s[38:39], v[148:149] op_sel:[0,0,1] op_sel_hi:[1,0,0]
	v_pk_fma_f32 v[148:149], v[124:125], s[38:39], v[148:149] op_sel:[0,0,1] op_sel_hi:[1,0,0] neg_lo:[0,0,1] neg_hi:[0,0,1]
	v_mov_b32_e32 v152, v150
	v_mov_b32_e32 v153, v149
	v_pk_add_f32 v[142:143], v[152:153], v[142:143]
	v_pk_mul_f32 v[152:153], v[118:119], s[22:23] op_sel_hi:[1,0]
	v_mov_b32_e32 v175, v171
	v_pk_fma_f32 v[154:155], v[108:109], s[36:37], v[152:153] op_sel:[0,0,1] op_sel_hi:[1,0,0]
	v_pk_fma_f32 v[152:153], v[108:109], s[36:37], v[152:153] op_sel:[0,0,1] op_sel_hi:[1,0,0] neg_lo:[0,0,1] neg_hi:[0,0,1]
	v_mov_b32_e32 v156, v154
	v_mov_b32_e32 v157, v153
	v_pk_add_f32 v[142:143], v[156:157], v[142:143]
	v_pk_mul_f32 v[156:157], v[116:117], s[12:13] op_sel_hi:[1,0]
	v_pk_mul_f32 v[196:197], v[122:123], s[20:21] op_sel_hi:[1,0]
	v_pk_fma_f32 v[158:159], v[114:115], s[10:11], v[156:157] op_sel:[0,0,1] op_sel_hi:[1,0,0]
	v_pk_fma_f32 v[156:157], v[114:115], s[10:11], v[156:157] op_sel:[0,0,1] op_sel_hi:[1,0,0] neg_lo:[0,0,1] neg_hi:[0,0,1]
	v_mov_b32_e32 v164, v158
	v_mov_b32_e32 v165, v157
	v_pk_add_f32 v[142:143], v[164:165], v[142:143]
	v_pk_mul_f32 v[164:165], v[134:135], s[14:15] op_sel_hi:[1,0]
	v_pk_fma_f32 v[198:199], v[120:121], s[8:9], v[196:197] op_sel:[0,0,1] op_sel_hi:[1,0,0]
	v_pk_fma_f32 v[166:167], v[132:133], s[40:41], v[164:165] op_sel:[0,0,1] op_sel_hi:[1,0,0]
	v_pk_fma_f32 v[164:165], v[132:133], s[40:41], v[164:165] op_sel:[0,0,1] op_sel_hi:[1,0,0] neg_lo:[0,0,1] neg_hi:[0,0,1]
	v_mov_b32_e32 v168, v166
	v_mov_b32_e32 v169, v165
	v_pk_add_f32 v[142:143], v[168:169], v[142:143]
	ds_write2_b64 v162, v[136:137], v[142:143] offset0:2 offset1:3
	v_pk_mul_f32 v[136:137], v[130:131], s[2:3] op_sel_hi:[1,0]
	v_pk_fma_f32 v[196:197], v[120:121], s[8:9], v[196:197] op_sel:[0,0,1] op_sel_hi:[1,0,0] neg_lo:[0,0,1] neg_hi:[0,0,1]
	v_pk_fma_f32 v[142:143], v[128:129], s[38:39], v[136:137] op_sel:[0,0,1] op_sel_hi:[1,0,0]
	v_pk_fma_f32 v[136:137], v[128:129], s[38:39], v[136:137] op_sel:[0,0,1] op_sel_hi:[1,0,0] neg_lo:[0,0,1] neg_hi:[0,0,1]
	v_mov_b32_e32 v168, v142
	v_mov_b32_e32 v169, v137
	v_pk_add_f32 v[168:169], v[24:25], v[168:169]
	v_mov_b32_e32 v200, v198
	v_pk_add_f32 v[168:169], v[174:175], v[168:169]
	v_pk_mul_f32 v[174:175], v[126:127], s[22:23] op_sel_hi:[1,0]
	v_mov_b32_e32 v201, v197
	v_pk_fma_f32 v[176:177], v[124:125], s[36:37], v[174:175] op_sel:[0,0,1] op_sel_hi:[1,0,0]
	v_pk_fma_f32 v[174:175], v[124:125], s[36:37], v[174:175] op_sel:[0,0,1] op_sel_hi:[1,0,0] neg_lo:[0,0,1] neg_hi:[0,0,1]
	v_mov_b32_e32 v178, v176
	v_mov_b32_e32 v179, v175
	v_pk_add_f32 v[168:169], v[178:179], v[168:169]
	v_pk_mul_f32 v[178:179], v[118:119], s[16:17] op_sel_hi:[1,0]
	v_pk_mul_f32 v[122:123], v[122:123], s[22:23] op_sel_hi:[1,0]
	v_pk_fma_f32 v[180:181], v[108:109], s[8:9], v[178:179] op_sel:[0,0,1] op_sel_hi:[1,0,0]
	v_pk_fma_f32 v[178:179], v[108:109], s[8:9], v[178:179] op_sel:[0,0,1] op_sel_hi:[1,0,0] neg_lo:[0,0,1] neg_hi:[0,0,1]
	v_mov_b32_e32 v182, v180
	v_mov_b32_e32 v183, v179
	v_pk_add_f32 v[168:169], v[182:183], v[168:169]
	v_pk_mul_f32 v[182:183], v[116:117], s[34:35] op_sel_hi:[1,0]
	v_mov_b32_e32 v137, v143
	v_pk_fma_f32 v[184:185], v[114:115], s[42:43], v[182:183] op_sel:[0,0,1] op_sel_hi:[1,0,0]
	v_pk_fma_f32 v[182:183], v[114:115], s[42:43], v[182:183] op_sel:[0,0,1] op_sel_hi:[1,0,0] neg_lo:[0,0,1] neg_hi:[0,0,1]
	v_mov_b32_e32 v186, v184
	v_mov_b32_e32 v187, v183
	v_pk_add_f32 v[168:169], v[186:187], v[168:169]
	v_pk_mul_f32 v[186:187], v[134:135], s[28:29] op_sel_hi:[1,0]
	v_mov_b32_e32 v197, v199
	v_pk_fma_f32 v[188:189], v[132:133], s[10:11], v[186:187] op_sel:[0,0,1] op_sel_hi:[1,0,0]
	v_pk_fma_f32 v[186:187], v[132:133], s[10:11], v[186:187] op_sel:[0,0,1] op_sel_hi:[1,0,0] neg_lo:[0,0,1] neg_hi:[0,0,1]
	v_mov_b32_e32 v190, v188
	v_mov_b32_e32 v191, v187
	v_pk_add_f32 v[168:169], v[190:191], v[168:169]
	v_pk_mul_f32 v[190:191], v[130:131], s[14:15] op_sel_hi:[1,0]
	v_pk_mul_f32 v[130:131], v[130:131], s[18:19] op_sel_hi:[1,0]
	v_pk_fma_f32 v[192:193], v[128:129], s[40:41], v[190:191] op_sel:[0,0,1] op_sel_hi:[1,0,0]
	v_pk_fma_f32 v[190:191], v[128:129], s[40:41], v[190:191] op_sel:[0,0,1] op_sel_hi:[1,0,0] neg_lo:[0,0,1] neg_hi:[0,0,1]
	v_mov_b32_e32 v194, v192
	v_mov_b32_e32 v195, v191
	v_pk_add_f32 v[194:195], v[24:25], v[194:195]
	v_mov_b32_e32 v191, v193
	v_pk_add_f32 v[194:195], v[200:201], v[194:195]
	v_pk_mul_f32 v[200:201], v[126:127], s[12:13] op_sel_hi:[1,0]
	v_pk_mul_f32 v[126:127], v[126:127], s[14:15] op_sel_hi:[1,0]
	v_pk_fma_f32 v[202:203], v[124:125], s[10:11], v[200:201] op_sel:[0,0,1] op_sel_hi:[1,0,0]
	v_pk_fma_f32 v[200:201], v[124:125], s[10:11], v[200:201] op_sel:[0,0,1] op_sel_hi:[1,0,0] neg_lo:[0,0,1] neg_hi:[0,0,1]
	v_mov_b32_e32 v204, v202
	v_mov_b32_e32 v205, v201
	v_pk_add_f32 v[194:195], v[204:205], v[194:195]
	v_pk_mul_f32 v[204:205], v[118:119], s[34:35] op_sel_hi:[1,0]
	v_pk_mul_f32 v[118:119], v[118:119], s[28:29] op_sel_hi:[1,0]
	v_pk_fma_f32 v[206:207], v[108:109], s[42:43], v[204:205] op_sel:[0,0,1] op_sel_hi:[1,0,0]
	v_pk_fma_f32 v[204:205], v[108:109], s[42:43], v[204:205] op_sel:[0,0,1] op_sel_hi:[1,0,0] neg_lo:[0,0,1] neg_hi:[0,0,1]
	v_mov_b32_e32 v208, v206
	;; [unrolled: 7-line block ×3, first 2 shown]
	v_mov_b32_e32 v213, v209
	v_pk_add_f32 v[194:195], v[212:213], v[194:195]
	v_pk_mul_f32 v[212:213], v[134:135], s[2:3] op_sel_hi:[1,0]
	v_mov_b32_e32 v171, v173
	v_pk_fma_f32 v[214:215], v[132:133], s[38:39], v[212:213] op_sel:[0,0,1] op_sel_hi:[1,0,0]
	v_pk_fma_f32 v[212:213], v[132:133], s[38:39], v[212:213] op_sel:[0,0,1] op_sel_hi:[1,0,0] neg_lo:[0,0,1] neg_hi:[0,0,1]
	v_mov_b32_e32 v216, v214
	v_mov_b32_e32 v217, v213
	v_pk_add_f32 v[194:195], v[216:217], v[194:195]
	ds_write2_b64 v162, v[168:169], v[194:195] offset0:4 offset1:5
	v_pk_fma_f32 v[168:169], v[128:129], s[42:43], v[130:131] op_sel:[0,0,1] op_sel_hi:[1,0,0]
	v_pk_fma_f32 v[128:129], v[128:129], s[42:43], v[130:131] op_sel:[0,0,1] op_sel_hi:[1,0,0] neg_lo:[0,0,1] neg_hi:[0,0,1]
	v_pk_fma_f32 v[130:131], v[120:121], s[36:37], v[122:123] op_sel:[0,0,1] op_sel_hi:[1,0,0]
	v_pk_fma_f32 v[120:121], v[120:121], s[36:37], v[122:123] op_sel:[0,0,1] op_sel_hi:[1,0,0] neg_lo:[0,0,1] neg_hi:[0,0,1]
	v_mov_b32_e32 v122, v168
	v_mov_b32_e32 v123, v129
	v_pk_add_f32 v[122:123], v[24:25], v[122:123]
	v_mov_b32_e32 v194, v130
	v_mov_b32_e32 v195, v121
	v_pk_add_f32 v[122:123], v[194:195], v[122:123]
	v_pk_fma_f32 v[194:195], v[124:125], s[40:41], v[126:127] op_sel:[0,0,1] op_sel_hi:[1,0,0]
	v_pk_fma_f32 v[124:125], v[124:125], s[40:41], v[126:127] op_sel:[0,0,1] op_sel_hi:[1,0,0] neg_lo:[0,0,1] neg_hi:[0,0,1]
	v_mov_b32_e32 v126, v194
	v_mov_b32_e32 v127, v125
	v_pk_add_f32 v[122:123], v[126:127], v[122:123]
	v_pk_fma_f32 v[126:127], v[108:109], s[10:11], v[118:119] op_sel:[0,0,1] op_sel_hi:[1,0,0]
	v_pk_fma_f32 v[108:109], v[108:109], s[10:11], v[118:119] op_sel:[0,0,1] op_sel_hi:[1,0,0] neg_lo:[0,0,1] neg_hi:[0,0,1]
	v_mov_b32_e32 v118, v126
	v_mov_b32_e32 v119, v109
	;; [unrolled: 1-line block ×3, first 2 shown]
	v_pk_add_f32 v[118:119], v[118:119], v[122:123]
	v_pk_fma_f32 v[122:123], v[114:115], s[38:39], v[116:117] op_sel:[0,0,1] op_sel_hi:[1,0,0]
	v_pk_fma_f32 v[114:115], v[114:115], s[38:39], v[116:117] op_sel:[0,0,1] op_sel_hi:[1,0,0] neg_lo:[0,0,1] neg_hi:[0,0,1]
	v_mov_b32_e32 v121, v131
	v_pk_add_f32 v[128:129], v[24:25], v[128:129]
	v_mov_b32_e32 v116, v122
	v_mov_b32_e32 v117, v115
	v_pk_add_f32 v[120:121], v[120:121], v[128:129]
	v_mov_b32_e32 v125, v195
	v_pk_add_f32 v[116:117], v[116:117], v[118:119]
	v_pk_mul_f32 v[118:119], v[134:135], s[20:21] op_sel_hi:[1,0]
	v_pk_add_f32 v[120:121], v[124:125], v[120:121]
	v_mov_b32_e32 v109, v127
	v_pk_fma_f32 v[134:135], v[132:133], s[8:9], v[118:119] op_sel:[0,0,1] op_sel_hi:[1,0,0]
	v_pk_fma_f32 v[118:119], v[132:133], s[8:9], v[118:119] op_sel:[0,0,1] op_sel_hi:[1,0,0] neg_lo:[0,0,1] neg_hi:[0,0,1]
	v_pk_add_f32 v[108:109], v[108:109], v[120:121]
	v_mov_b32_e32 v115, v123
	v_mov_b32_e32 v132, v134
	;; [unrolled: 1-line block ×3, first 2 shown]
	v_pk_add_f32 v[108:109], v[114:115], v[108:109]
	v_mov_b32_e32 v119, v135
	v_pk_add_f32 v[116:117], v[132:133], v[116:117]
	v_pk_add_f32 v[108:109], v[118:119], v[108:109]
	ds_write2_b64 v162, v[116:117], v[108:109] offset0:6 offset1:7
	v_pk_add_f32 v[108:109], v[24:25], v[190:191]
	v_pk_add_f32 v[114:115], v[24:25], v[136:137]
	;; [unrolled: 1-line block ×3, first 2 shown]
	v_mov_b32_e32 v201, v203
	v_pk_add_f32 v[114:115], v[170:171], v[114:115]
	v_mov_b32_e32 v175, v177
	v_pk_add_f32 v[108:109], v[200:201], v[108:109]
	;; [unrolled: 2-line block ×8, first 2 shown]
	v_pk_add_f32 v[114:115], v[186:187], v[114:115]
	v_mov_b32_e32 v139, v141
	v_mov_b32_e32 v89, v91
	;; [unrolled: 1-line block ×3, first 2 shown]
	ds_write2_b64 v162, v[108:109], v[114:115] offset0:8 offset1:9
	v_mov_b32_e32 v145, v147
	v_pk_add_f32 v[108:109], v[24:25], v[138:139]
	v_mov_b32_e32 v93, v95
	v_pk_add_f32 v[88:89], v[24:25], v[88:89]
	v_pk_add_f32 v[24:25], v[24:25], v[66:67]
	v_mov_b32_e32 v71, v69
	v_pk_add_f32 v[108:109], v[144:145], v[108:109]
	v_mov_b32_e32 v149, v151
	;; [unrolled: 2-line block ×13, first 2 shown]
	v_pk_add_f32 v[108:109], v[164:165], v[108:109]
	v_pk_add_f32 v[88:89], v[112:113], v[88:89]
	;; [unrolled: 1-line block ×3, first 2 shown]
	ds_write2_b64 v162, v[108:109], v[88:89] offset0:10 offset1:11
	ds_write_b64 v162, v[24:25] offset:96
	s_waitcnt lgkmcnt(0)
	s_barrier
	ds_read2_b64 v[24:27], v160 offset0:52 offset1:65
	ds_read2_b64 v[66:69], v160 offset0:78 offset1:91
	s_waitcnt lgkmcnt(1)
	v_pk_mul_f32 v[62:63], v[62:63], v[24:25] op_sel_hi:[0,1]
	v_pk_fma_f32 v[70:71], v[2:3], v[24:25], v[62:63] op_sel:[0,0,1] op_sel_hi:[1,1,0]
	v_pk_fma_f32 v[2:3], v[2:3], v[24:25], v[62:63] op_sel:[0,0,1] op_sel_hi:[0,1,0] neg_lo:[0,0,1] neg_hi:[0,0,1]
	v_pk_mul_f32 v[24:25], v[8:9], v[26:27] op_sel:[1,0]
	v_mov_b32_e32 v71, v3
	s_waitcnt lgkmcnt(0)
	v_pk_mul_f32 v[2:3], v[60:61], v[66:67] op_sel_hi:[0,1]
	v_pk_fma_f32 v[62:63], v[8:9], v[26:27], v[24:25] op_sel:[0,0,1] op_sel_hi:[1,1,0]
	v_pk_fma_f32 v[24:25], v[8:9], v[26:27], v[24:25] op_sel:[0,0,1] op_sel_hi:[0,1,0] neg_lo:[0,0,1] neg_hi:[0,0,1]
	v_pk_fma_f32 v[60:61], v[10:11], v[66:67], v[2:3] op_sel:[0,0,1] op_sel_hi:[1,1,0]
	v_pk_fma_f32 v[2:3], v[10:11], v[66:67], v[2:3] op_sel:[0,0,1] op_sel_hi:[0,1,0] neg_lo:[0,0,1] neg_hi:[0,0,1]
	ds_read2_b64 v[8:11], v160 offset0:104 offset1:117
	v_mov_b32_e32 v63, v25
	v_mov_b32_e32 v61, v3
	v_pk_mul_f32 v[2:3], v[4:5], v[68:69] op_sel:[1,0]
	ds_read2_b64 v[24:27], v160 offset0:130 offset1:143
	v_pk_fma_f32 v[66:67], v[4:5], v[68:69], v[2:3] op_sel:[0,0,1] op_sel_hi:[1,1,0]
	v_pk_fma_f32 v[2:3], v[4:5], v[68:69], v[2:3] op_sel:[0,0,1] op_sel_hi:[0,1,0] neg_lo:[0,0,1] neg_hi:[0,0,1]
	v_mov_b32_e32 v67, v3
	s_waitcnt lgkmcnt(1)
	v_pk_mul_f32 v[2:3], v[58:59], v[8:9] op_sel_hi:[0,1]
	v_pk_fma_f32 v[58:59], v[6:7], v[8:9], v[2:3] op_sel:[0,0,1] op_sel_hi:[1,1,0]
	v_pk_fma_f32 v[6:7], v[6:7], v[8:9], v[2:3] op_sel:[0,0,1] op_sel_hi:[0,1,0] neg_lo:[0,0,1] neg_hi:[0,0,1]
	v_pk_mul_f32 v[2:3], v[16:17], v[10:11] op_sel:[1,0]
	v_mov_b32_e32 v59, v7
	v_pk_fma_f32 v[68:69], v[16:17], v[10:11], v[2:3] op_sel:[0,0,1] op_sel_hi:[1,1,0]
	v_pk_fma_f32 v[8:9], v[16:17], v[10:11], v[2:3] op_sel:[0,0,1] op_sel_hi:[0,1,0] neg_lo:[0,0,1] neg_hi:[0,0,1]
	ds_read_b64 v[6:7], v160 offset:1248
	v_mov_b32_e32 v69, v9
	s_waitcnt lgkmcnt(1)
	v_pk_mul_f32 v[8:9], v[56:57], v[24:25] op_sel_hi:[0,1]
	v_pk_fma_f32 v[10:11], v[18:19], v[24:25], v[8:9] op_sel:[0,0,1] op_sel_hi:[1,1,0]
	v_pk_fma_f32 v[8:9], v[18:19], v[24:25], v[8:9] op_sel:[0,0,1] op_sel_hi:[0,1,0] neg_lo:[0,0,1] neg_hi:[0,0,1]
	v_mov_b32_e32 v11, v9
	v_pk_mul_f32 v[8:9], v[20:21], v[26:27] op_sel:[1,0]
	ds_read2_b64 v[2:5], v160 offset1:13
	v_pk_fma_f32 v[16:17], v[20:21], v[26:27], v[8:9] op_sel:[0,0,1] op_sel_hi:[1,1,0]
	v_pk_fma_f32 v[8:9], v[20:21], v[26:27], v[8:9] op_sel:[0,0,1] op_sel_hi:[0,1,0] neg_lo:[0,0,1] neg_hi:[0,0,1]
	v_mov_b32_e32 v17, v9
	s_waitcnt lgkmcnt(1)
	v_pk_mul_f32 v[8:9], v[64:65], v[6:7] op_sel_hi:[0,1]
	v_pk_fma_f32 v[18:19], v[22:23], v[6:7], v[8:9] op_sel:[0,0,1] op_sel_hi:[1,1,0]
	v_pk_fma_f32 v[6:7], v[22:23], v[6:7], v[8:9] op_sel:[0,0,1] op_sel_hi:[0,1,0] neg_lo:[0,0,1] neg_hi:[0,0,1]
	v_mov_b32_e32 v19, v7
	ds_read2_b64 v[6:9], v160 offset0:26 offset1:39
	s_waitcnt lgkmcnt(1)
	v_pk_mul_f32 v[20:21], v[12:13], v[4:5] op_sel:[1,0]
	v_pk_add_f32 v[88:89], v[70:71], v[68:69] neg_lo:[0,1] neg_hi:[0,1]
	v_pk_fma_f32 v[22:23], v[12:13], v[4:5], v[20:21] op_sel:[0,0,1] op_sel_hi:[1,1,0]
	v_pk_fma_f32 v[4:5], v[12:13], v[4:5], v[20:21] op_sel:[0,0,1] op_sel_hi:[0,1,0] neg_lo:[0,0,1] neg_hi:[0,0,1]
	v_mov_b32_e32 v4, v15
	v_mov_b32_e32 v23, v5
	s_waitcnt lgkmcnt(0)
	v_pk_mul_f32 v[4:5], v[4:5], v[6:7] op_sel_hi:[0,1]
	v_pk_fma_f32 v[12:13], v[14:15], v[6:7], v[4:5] op_sel:[0,0,1] op_sel_hi:[1,1,0]
	v_pk_fma_f32 v[4:5], v[14:15], v[6:7], v[4:5] op_sel:[0,0,1] op_sel_hi:[0,1,0] neg_lo:[0,0,1] neg_hi:[0,0,1]
	v_mov_b32_e32 v13, v5
	v_pk_mul_f32 v[4:5], v[0:1], v[8:9] op_sel:[1,0]
	v_pk_add_f32 v[76:77], v[22:23], v[18:19] neg_lo:[0,1] neg_hi:[0,1]
	v_pk_fma_f32 v[14:15], v[0:1], v[8:9], v[4:5] op_sel:[0,0,1] op_sel_hi:[1,1,0]
	v_pk_fma_f32 v[0:1], v[0:1], v[8:9], v[4:5] op_sel:[0,0,1] op_sel_hi:[0,1,0] neg_lo:[0,0,1] neg_hi:[0,0,1]
	v_mov_b32_e32 v15, v1
	v_pk_add_f32 v[0:1], v[2:3], v[22:23]
	v_pk_add_f32 v[74:75], v[22:23], v[18:19]
	;; [unrolled: 1-line block ×3, first 2 shown]
	v_pk_mul_f32 v[4:5], v[76:77], s[24:25] op_sel_hi:[1,0]
	v_pk_add_f32 v[0:1], v[0:1], v[14:15]
	v_pk_add_f32 v[80:81], v[12:13], v[16:17] neg_lo:[0,1] neg_hi:[0,1]
	v_pk_add_f32 v[0:1], v[0:1], v[70:71]
	v_pk_add_f32 v[78:79], v[12:13], v[16:17]
	;; [unrolled: 1-line block ×3, first 2 shown]
	v_pk_mul_f32 v[8:9], v[80:81], s[12:13] op_sel_hi:[1,0]
	v_pk_add_f32 v[0:1], v[0:1], v[60:61]
	v_pk_add_f32 v[84:85], v[14:15], v[10:11] neg_lo:[0,1] neg_hi:[0,1]
	v_pk_add_f32 v[0:1], v[0:1], v[66:67]
	v_pk_add_f32 v[82:83], v[14:15], v[10:11]
	;; [unrolled: 1-line block ×5, first 2 shown]
	v_pk_add_f32 v[92:93], v[62:63], v[58:59] neg_lo:[0,1] neg_hi:[0,1]
	v_pk_add_f32 v[0:1], v[0:1], v[10:11]
	v_pk_add_f32 v[90:91], v[62:63], v[58:59]
	;; [unrolled: 1-line block ×3, first 2 shown]
	v_pk_add_f32 v[96:97], v[60:61], v[66:67] neg_lo:[0,1] neg_hi:[0,1]
	v_pk_add_f32 v[26:27], v[0:1], v[18:19]
	v_pk_fma_f32 v[0:1], v[74:75], s[36:37], v[4:5] op_sel:[0,0,1] op_sel_hi:[1,0,0]
	v_pk_fma_f32 v[4:5], v[74:75], s[36:37], v[4:5] op_sel:[0,0,1] op_sel_hi:[1,0,0] neg_lo:[0,0,1] neg_hi:[0,0,1]
	v_mov_b32_e32 v6, v0
	v_mov_b32_e32 v7, v5
	v_pk_add_f32 v[18:19], v[2:3], v[6:7]
	v_pk_fma_f32 v[6:7], v[78:79], s[10:11], v[8:9] op_sel:[0,0,1] op_sel_hi:[1,0,0]
	v_pk_fma_f32 v[8:9], v[78:79], s[10:11], v[8:9] op_sel:[0,0,1] op_sel_hi:[1,0,0] neg_lo:[0,0,1] neg_hi:[0,0,1]
	v_mov_b32_e32 v12, v6
	v_mov_b32_e32 v13, v9
	v_pk_add_f32 v[16:17], v[12:13], v[18:19]
	v_pk_mul_f32 v[12:13], v[84:85], s[16:17] op_sel_hi:[1,0]
	v_pk_add_f32 v[94:95], v[60:61], v[66:67]
	v_pk_fma_f32 v[10:11], v[82:83], s[8:9], v[12:13] op_sel:[0,0,1] op_sel_hi:[1,0,0]
	v_pk_fma_f32 v[12:13], v[82:83], s[8:9], v[12:13] op_sel:[0,0,1] op_sel_hi:[1,0,0] neg_lo:[0,0,1] neg_hi:[0,0,1]
	v_mov_b32_e32 v14, v10
	v_mov_b32_e32 v15, v13
	v_pk_add_f32 v[18:19], v[14:15], v[16:17]
	v_pk_mul_f32 v[16:17], v[88:89], s[2:3] op_sel_hi:[1,0]
	v_pk_mul_f32 v[110:111], v[80:81], s[18:19] op_sel_hi:[1,0]
	v_pk_fma_f32 v[14:15], v[86:87], s[38:39], v[16:17] op_sel:[0,0,1] op_sel_hi:[1,0,0]
	v_pk_fma_f32 v[16:17], v[86:87], s[38:39], v[16:17] op_sel:[0,0,1] op_sel_hi:[1,0,0] neg_lo:[0,0,1] neg_hi:[0,0,1]
	v_mov_b32_e32 v20, v14
	v_mov_b32_e32 v21, v17
	v_pk_add_f32 v[22:23], v[20:21], v[18:19]
	v_pk_mul_f32 v[20:21], v[92:93], s[14:15] op_sel_hi:[1,0]
	v_pk_fma_f32 v[112:113], v[78:79], s[42:43], v[110:111] op_sel:[0,0,1] op_sel_hi:[1,0,0]
	v_pk_fma_f32 v[18:19], v[90:91], s[40:41], v[20:21] op_sel:[0,0,1] op_sel_hi:[1,0,0]
	v_pk_fma_f32 v[20:21], v[90:91], s[40:41], v[20:21] op_sel:[0,0,1] op_sel_hi:[1,0,0] neg_lo:[0,0,1] neg_hi:[0,0,1]
	v_mov_b32_e32 v24, v18
	v_mov_b32_e32 v25, v21
	v_pk_add_f32 v[56:57], v[24:25], v[22:23]
	v_pk_mul_f32 v[24:25], v[96:97], s[18:19] op_sel_hi:[1,0]
	v_pk_fma_f32 v[110:111], v[78:79], s[42:43], v[110:111] op_sel:[0,0,1] op_sel_hi:[1,0,0] neg_lo:[0,0,1] neg_hi:[0,0,1]
	v_pk_fma_f32 v[22:23], v[94:95], s[42:43], v[24:25] op_sel:[0,0,1] op_sel_hi:[1,0,0]
	v_pk_fma_f32 v[24:25], v[94:95], s[42:43], v[24:25] op_sel:[0,0,1] op_sel_hi:[1,0,0] neg_lo:[0,0,1] neg_hi:[0,0,1]
	v_mov_b32_e32 v58, v22
	v_mov_b32_e32 v59, v25
	v_pk_add_f32 v[56:57], v[58:59], v[56:57]
	ds_write2_b64 v160, v[26:27], v[56:57] offset1:13
	v_pk_mul_f32 v[26:27], v[76:77], s[12:13] op_sel_hi:[1,0]
	v_mov_b32_e32 v114, v112
	v_pk_fma_f32 v[58:59], v[74:75], s[10:11], v[26:27] op_sel:[0,0,1] op_sel_hi:[1,0,0]
	v_pk_fma_f32 v[56:57], v[74:75], s[10:11], v[26:27] op_sel:[0,0,1] op_sel_hi:[1,0,0] neg_lo:[0,0,1] neg_hi:[0,0,1]
	v_mov_b32_e32 v26, v58
	v_mov_b32_e32 v27, v57
	v_pk_add_f32 v[60:61], v[2:3], v[26:27]
	v_pk_mul_f32 v[26:27], v[80:81], s[2:3] op_sel_hi:[1,0]
	v_mov_b32_e32 v115, v111
	v_pk_fma_f32 v[66:67], v[78:79], s[38:39], v[26:27] op_sel:[0,0,1] op_sel_hi:[1,0,0]
	v_pk_fma_f32 v[26:27], v[78:79], s[38:39], v[26:27] op_sel:[0,0,1] op_sel_hi:[1,0,0] neg_lo:[0,0,1] neg_hi:[0,0,1]
	v_mov_b32_e32 v62, v66
	v_mov_b32_e32 v63, v27
	v_pk_add_f32 v[64:65], v[62:63], v[60:61]
	v_pk_mul_f32 v[62:63], v[84:85], s[18:19] op_sel_hi:[1,0]
	v_pk_mul_f32 v[132:133], v[80:81], s[26:27] op_sel_hi:[1,0]
	v_pk_fma_f32 v[60:61], v[82:83], s[42:43], v[62:63] op_sel:[0,0,1] op_sel_hi:[1,0,0]
	v_pk_fma_f32 v[62:63], v[82:83], s[42:43], v[62:63] op_sel:[0,0,1] op_sel_hi:[1,0,0] neg_lo:[0,0,1] neg_hi:[0,0,1]
	v_mov_b32_e32 v68, v60
	v_mov_b32_e32 v69, v63
	v_pk_add_f32 v[70:71], v[68:69], v[64:65]
	v_pk_mul_f32 v[64:65], v[88:89], s[26:27] op_sel_hi:[1,0]
	v_pk_fma_f32 v[134:135], v[78:79], s[40:41], v[132:133] op_sel:[0,0,1] op_sel_hi:[1,0,0]
	v_pk_fma_f32 v[68:69], v[86:87], s[40:41], v[64:65] op_sel:[0,0,1] op_sel_hi:[1,0,0]
	v_pk_fma_f32 v[64:65], v[86:87], s[40:41], v[64:65] op_sel:[0,0,1] op_sel_hi:[1,0,0] neg_lo:[0,0,1] neg_hi:[0,0,1]
	v_mov_b32_e32 v72, v68
	v_mov_b32_e32 v73, v65
	v_pk_add_f32 v[98:99], v[72:73], v[70:71]
	v_pk_mul_f32 v[72:73], v[92:93], s[20:21] op_sel_hi:[1,0]
	v_pk_fma_f32 v[132:133], v[78:79], s[40:41], v[132:133] op_sel:[0,0,1] op_sel_hi:[1,0,0] neg_lo:[0,0,1] neg_hi:[0,0,1]
	v_pk_fma_f32 v[70:71], v[90:91], s[8:9], v[72:73] op_sel:[0,0,1] op_sel_hi:[1,0,0]
	v_pk_fma_f32 v[72:73], v[90:91], s[8:9], v[72:73] op_sel:[0,0,1] op_sel_hi:[1,0,0] neg_lo:[0,0,1] neg_hi:[0,0,1]
	v_mov_b32_e32 v100, v70
	v_mov_b32_e32 v101, v73
	v_pk_add_f32 v[98:99], v[100:101], v[98:99]
	v_pk_mul_f32 v[100:101], v[96:97], s[22:23] op_sel_hi:[1,0]
	v_mov_b32_e32 v136, v134
	v_pk_fma_f32 v[102:103], v[94:95], s[36:37], v[100:101] op_sel:[0,0,1] op_sel_hi:[1,0,0]
	v_pk_fma_f32 v[100:101], v[94:95], s[36:37], v[100:101] op_sel:[0,0,1] op_sel_hi:[1,0,0] neg_lo:[0,0,1] neg_hi:[0,0,1]
	v_mov_b32_e32 v104, v102
	v_mov_b32_e32 v105, v101
	v_pk_add_f32 v[98:99], v[104:105], v[98:99]
	v_pk_mul_f32 v[104:105], v[76:77], s[16:17] op_sel_hi:[1,0]
	v_mov_b32_e32 v137, v133
	v_pk_fma_f32 v[106:107], v[74:75], s[8:9], v[104:105] op_sel:[0,0,1] op_sel_hi:[1,0,0]
	v_pk_fma_f32 v[104:105], v[74:75], s[8:9], v[104:105] op_sel:[0,0,1] op_sel_hi:[1,0,0] neg_lo:[0,0,1] neg_hi:[0,0,1]
	v_mov_b32_e32 v108, v106
	v_mov_b32_e32 v109, v105
	v_pk_add_f32 v[108:109], v[2:3], v[108:109]
	v_pk_mul_f32 v[158:159], v[80:81], s[20:21] op_sel_hi:[1,0]
	v_pk_add_f32 v[108:109], v[114:115], v[108:109]
	v_pk_mul_f32 v[114:115], v[84:85], s[30:31] op_sel_hi:[1,0]
	v_pk_fma_f32 v[162:163], v[78:79], s[8:9], v[158:159] op_sel:[0,0,1] op_sel_hi:[1,0,0]
	v_pk_fma_f32 v[116:117], v[82:83], s[38:39], v[114:115] op_sel:[0,0,1] op_sel_hi:[1,0,0]
	v_pk_fma_f32 v[114:115], v[82:83], s[38:39], v[114:115] op_sel:[0,0,1] op_sel_hi:[1,0,0] neg_lo:[0,0,1] neg_hi:[0,0,1]
	v_mov_b32_e32 v118, v116
	v_mov_b32_e32 v119, v115
	v_pk_add_f32 v[108:109], v[118:119], v[108:109]
	v_pk_mul_f32 v[118:119], v[88:89], s[22:23] op_sel_hi:[1,0]
	v_pk_fma_f32 v[158:159], v[78:79], s[8:9], v[158:159] op_sel:[0,0,1] op_sel_hi:[1,0,0] neg_lo:[0,0,1] neg_hi:[0,0,1]
	v_pk_fma_f32 v[120:121], v[86:87], s[36:37], v[118:119] op_sel:[0,0,1] op_sel_hi:[1,0,0]
	v_pk_fma_f32 v[118:119], v[86:87], s[36:37], v[118:119] op_sel:[0,0,1] op_sel_hi:[1,0,0] neg_lo:[0,0,1] neg_hi:[0,0,1]
	v_mov_b32_e32 v122, v120
	v_mov_b32_e32 v123, v119
	v_pk_add_f32 v[108:109], v[122:123], v[108:109]
	v_pk_mul_f32 v[122:123], v[92:93], s[12:13] op_sel_hi:[1,0]
	v_mov_b32_e32 v164, v162
	v_pk_fma_f32 v[124:125], v[90:91], s[10:11], v[122:123] op_sel:[0,0,1] op_sel_hi:[1,0,0]
	v_pk_fma_f32 v[122:123], v[90:91], s[10:11], v[122:123] op_sel:[0,0,1] op_sel_hi:[1,0,0] neg_lo:[0,0,1] neg_hi:[0,0,1]
	v_mov_b32_e32 v126, v124
	v_mov_b32_e32 v127, v123
	v_pk_add_f32 v[108:109], v[126:127], v[108:109]
	v_pk_mul_f32 v[126:127], v[96:97], s[14:15] op_sel_hi:[1,0]
	v_mov_b32_e32 v165, v159
	v_pk_fma_f32 v[128:129], v[94:95], s[40:41], v[126:127] op_sel:[0,0,1] op_sel_hi:[1,0,0]
	v_pk_fma_f32 v[126:127], v[94:95], s[40:41], v[126:127] op_sel:[0,0,1] op_sel_hi:[1,0,0] neg_lo:[0,0,1] neg_hi:[0,0,1]
	v_mov_b32_e32 v130, v128
	v_mov_b32_e32 v131, v127
	v_pk_add_f32 v[108:109], v[130:131], v[108:109]
	ds_write2_b64 v160, v[98:99], v[108:109] offset0:26 offset1:39
	v_pk_mul_f32 v[98:99], v[76:77], s[2:3] op_sel_hi:[1,0]
	v_mov_b32_e32 v159, v163
	v_pk_fma_f32 v[108:109], v[74:75], s[38:39], v[98:99] op_sel:[0,0,1] op_sel_hi:[1,0,0]
	v_pk_fma_f32 v[98:99], v[74:75], s[38:39], v[98:99] op_sel:[0,0,1] op_sel_hi:[1,0,0] neg_lo:[0,0,1] neg_hi:[0,0,1]
	v_mov_b32_e32 v130, v108
	v_mov_b32_e32 v131, v99
	v_pk_add_f32 v[130:131], v[2:3], v[130:131]
	v_mov_b32_e32 v99, v109
	v_pk_add_f32 v[130:131], v[136:137], v[130:131]
	v_pk_mul_f32 v[136:137], v[84:85], s[22:23] op_sel_hi:[1,0]
	v_mov_b32_e32 v133, v135
	v_pk_fma_f32 v[138:139], v[82:83], s[36:37], v[136:137] op_sel:[0,0,1] op_sel_hi:[1,0,0]
	v_pk_fma_f32 v[136:137], v[82:83], s[36:37], v[136:137] op_sel:[0,0,1] op_sel_hi:[1,0,0] neg_lo:[0,0,1] neg_hi:[0,0,1]
	v_mov_b32_e32 v140, v138
	v_mov_b32_e32 v141, v137
	v_pk_add_f32 v[130:131], v[140:141], v[130:131]
	v_pk_mul_f32 v[140:141], v[88:89], s[16:17] op_sel_hi:[1,0]
	v_mov_b32_e32 v137, v139
	v_pk_fma_f32 v[142:143], v[86:87], s[8:9], v[140:141] op_sel:[0,0,1] op_sel_hi:[1,0,0]
	v_pk_fma_f32 v[140:141], v[86:87], s[8:9], v[140:141] op_sel:[0,0,1] op_sel_hi:[1,0,0] neg_lo:[0,0,1] neg_hi:[0,0,1]
	v_mov_b32_e32 v144, v142
	;; [unrolled: 7-line block ×4, first 2 shown]
	v_mov_b32_e32 v153, v149
	v_pk_add_f32 v[130:131], v[152:153], v[130:131]
	v_pk_mul_f32 v[152:153], v[76:77], s[14:15] op_sel_hi:[1,0]
	v_pk_mul_f32 v[76:77], v[76:77], s[18:19] op_sel_hi:[1,0]
	v_pk_fma_f32 v[154:155], v[74:75], s[40:41], v[152:153] op_sel:[0,0,1] op_sel_hi:[1,0,0]
	v_pk_fma_f32 v[152:153], v[74:75], s[40:41], v[152:153] op_sel:[0,0,1] op_sel_hi:[1,0,0] neg_lo:[0,0,1] neg_hi:[0,0,1]
	v_mov_b32_e32 v156, v154
	v_mov_b32_e32 v157, v153
	v_pk_add_f32 v[156:157], v[2:3], v[156:157]
	v_mov_b32_e32 v153, v155
	v_pk_add_f32 v[156:157], v[164:165], v[156:157]
	v_pk_mul_f32 v[164:165], v[84:85], s[12:13] op_sel_hi:[1,0]
	v_pk_mul_f32 v[84:85], v[84:85], s[14:15] op_sel_hi:[1,0]
	v_pk_fma_f32 v[166:167], v[82:83], s[10:11], v[164:165] op_sel:[0,0,1] op_sel_hi:[1,0,0]
	v_pk_fma_f32 v[164:165], v[82:83], s[10:11], v[164:165] op_sel:[0,0,1] op_sel_hi:[1,0,0] neg_lo:[0,0,1] neg_hi:[0,0,1]
	v_mov_b32_e32 v168, v166
	v_mov_b32_e32 v169, v165
	v_pk_add_f32 v[156:157], v[168:169], v[156:157]
	v_pk_mul_f32 v[168:169], v[88:89], s[34:35] op_sel_hi:[1,0]
	v_mov_b32_e32 v165, v167
	v_pk_fma_f32 v[170:171], v[86:87], s[42:43], v[168:169] op_sel:[0,0,1] op_sel_hi:[1,0,0]
	v_pk_fma_f32 v[168:169], v[86:87], s[42:43], v[168:169] op_sel:[0,0,1] op_sel_hi:[1,0,0] neg_lo:[0,0,1] neg_hi:[0,0,1]
	v_mov_b32_e32 v172, v170
	v_mov_b32_e32 v173, v169
	v_pk_add_f32 v[156:157], v[172:173], v[156:157]
	v_pk_mul_f32 v[172:173], v[92:93], s[22:23] op_sel_hi:[1,0]
	v_mov_b32_e32 v169, v171
	;; [unrolled: 7-line block ×3, first 2 shown]
	v_pk_fma_f32 v[178:179], v[94:95], s[38:39], v[176:177] op_sel:[0,0,1] op_sel_hi:[1,0,0]
	v_pk_fma_f32 v[176:177], v[94:95], s[38:39], v[176:177] op_sel:[0,0,1] op_sel_hi:[1,0,0] neg_lo:[0,0,1] neg_hi:[0,0,1]
	v_mov_b32_e32 v180, v178
	v_mov_b32_e32 v181, v177
	v_pk_add_f32 v[156:157], v[180:181], v[156:157]
	ds_write2_b64 v160, v[130:131], v[156:157] offset0:52 offset1:65
	v_pk_fma_f32 v[130:131], v[74:75], s[42:43], v[76:77] op_sel:[0,0,1] op_sel_hi:[1,0,0]
	v_pk_fma_f32 v[74:75], v[74:75], s[42:43], v[76:77] op_sel:[0,0,1] op_sel_hi:[1,0,0] neg_lo:[0,0,1] neg_hi:[0,0,1]
	v_pk_mul_f32 v[76:77], v[80:81], s[22:23] op_sel_hi:[1,0]
	v_mov_b32_e32 v177, v179
	v_pk_fma_f32 v[80:81], v[78:79], s[36:37], v[76:77] op_sel:[0,0,1] op_sel_hi:[1,0,0]
	v_pk_fma_f32 v[76:77], v[78:79], s[36:37], v[76:77] op_sel:[0,0,1] op_sel_hi:[1,0,0] neg_lo:[0,0,1] neg_hi:[0,0,1]
	v_mov_b32_e32 v78, v130
	v_mov_b32_e32 v79, v75
	v_pk_add_f32 v[78:79], v[2:3], v[78:79]
	v_mov_b32_e32 v156, v80
	v_mov_b32_e32 v157, v77
	v_pk_add_f32 v[78:79], v[156:157], v[78:79]
	v_pk_fma_f32 v[156:157], v[82:83], s[40:41], v[84:85] op_sel:[0,0,1] op_sel_hi:[1,0,0]
	v_pk_fma_f32 v[82:83], v[82:83], s[40:41], v[84:85] op_sel:[0,0,1] op_sel_hi:[1,0,0] neg_lo:[0,0,1] neg_hi:[0,0,1]
	v_mov_b32_e32 v84, v156
	v_mov_b32_e32 v85, v83
	v_pk_add_f32 v[78:79], v[84:85], v[78:79]
	v_pk_mul_f32 v[84:85], v[88:89], s[28:29] op_sel_hi:[1,0]
	v_mov_b32_e32 v75, v131
	v_pk_fma_f32 v[88:89], v[86:87], s[10:11], v[84:85] op_sel:[0,0,1] op_sel_hi:[1,0,0]
	v_pk_fma_f32 v[84:85], v[86:87], s[10:11], v[84:85] op_sel:[0,0,1] op_sel_hi:[1,0,0] neg_lo:[0,0,1] neg_hi:[0,0,1]
	v_mov_b32_e32 v86, v88
	v_mov_b32_e32 v87, v85
	v_pk_add_f32 v[78:79], v[86:87], v[78:79]
	v_pk_mul_f32 v[86:87], v[92:93], s[2:3] op_sel_hi:[1,0]
	v_mov_b32_e32 v77, v81
	v_pk_fma_f32 v[92:93], v[90:91], s[38:39], v[86:87] op_sel:[0,0,1] op_sel_hi:[1,0,0]
	v_pk_fma_f32 v[86:87], v[90:91], s[38:39], v[86:87] op_sel:[0,0,1] op_sel_hi:[1,0,0] neg_lo:[0,0,1] neg_hi:[0,0,1]
	v_pk_add_f32 v[74:75], v[2:3], v[74:75]
	v_mov_b32_e32 v90, v92
	v_mov_b32_e32 v91, v87
	v_pk_add_f32 v[74:75], v[76:77], v[74:75]
	v_mov_b32_e32 v83, v157
	v_pk_add_f32 v[78:79], v[90:91], v[78:79]
	v_pk_mul_f32 v[90:91], v[96:97], s[20:21] op_sel_hi:[1,0]
	v_pk_add_f32 v[74:75], v[82:83], v[74:75]
	v_mov_b32_e32 v85, v89
	v_pk_fma_f32 v[96:97], v[94:95], s[8:9], v[90:91] op_sel:[0,0,1] op_sel_hi:[1,0,0]
	v_pk_fma_f32 v[90:91], v[94:95], s[8:9], v[90:91] op_sel:[0,0,1] op_sel_hi:[1,0,0] neg_lo:[0,0,1] neg_hi:[0,0,1]
	v_pk_add_f32 v[74:75], v[84:85], v[74:75]
	v_mov_b32_e32 v87, v93
	v_mov_b32_e32 v94, v96
	;; [unrolled: 1-line block ×3, first 2 shown]
	v_pk_add_f32 v[74:75], v[86:87], v[74:75]
	v_mov_b32_e32 v91, v97
	v_pk_add_f32 v[78:79], v[94:95], v[78:79]
	v_pk_add_f32 v[74:75], v[90:91], v[74:75]
	ds_write2_b64 v160, v[78:79], v[74:75] offset0:78 offset1:91
	v_pk_add_f32 v[74:75], v[2:3], v[152:153]
	v_pk_add_f32 v[76:77], v[2:3], v[98:99]
	;; [unrolled: 1-line block ×10, first 2 shown]
	v_mov_b32_e32 v149, v151
	v_pk_add_f32 v[74:75], v[176:177], v[74:75]
	v_pk_add_f32 v[76:77], v[148:149], v[76:77]
	v_mov_b32_e32 v105, v107
	v_mov_b32_e32 v57, v59
	;; [unrolled: 1-line block ×3, first 2 shown]
	ds_write2_b64 v160, v[74:75], v[76:77] offset0:104 offset1:117
	v_mov_b32_e32 v111, v113
	v_pk_add_f32 v[74:75], v[2:3], v[104:105]
	v_mov_b32_e32 v27, v67
	v_pk_add_f32 v[56:57], v[2:3], v[56:57]
	v_pk_add_f32 v[0:1], v[2:3], v[4:5]
	v_mov_b32_e32 v9, v7
	v_pk_add_f32 v[74:75], v[110:111], v[74:75]
	v_mov_b32_e32 v115, v117
	;; [unrolled: 2-line block ×13, first 2 shown]
	v_pk_add_f32 v[74:75], v[126:127], v[74:75]
	v_pk_add_f32 v[26:27], v[100:101], v[26:27]
	;; [unrolled: 1-line block ×3, first 2 shown]
	ds_write2_b64 v160, v[74:75], v[26:27] offset0:130 offset1:143
	ds_write_b64 v160, v[0:1] offset:1248
	s_waitcnt lgkmcnt(0)
	s_barrier
	ds_read2_b64 v[0:3], v160 offset1:13
	v_mov_b32_e32 v56, s0
	v_mov_b32_e32 v57, s1
	v_mad_u64_u32 v[58:59], s[0:1], s6, v36, 0
	v_mov_b32_e32 v4, v59
	v_mad_u64_u32 v[4:5], s[0:1], s7, v36, v[4:5]
	v_mov_b32_e32 v59, v4
	s_waitcnt lgkmcnt(0)
	v_mul_f32_e32 v4, v53, v1
	v_fmac_f32_e32 v4, v52, v0
	v_mul_f32_e32 v0, v53, v0
	s_mov_b32 s0, 0x7ab2bedd
	v_fma_f32 v0, v52, v1, -v0
	v_cvt_f64_f32_e32 v[4:5], v4
	s_mov_b32 s1, 0x3f783c97
	v_cvt_f64_f32_e32 v[0:1], v0
	v_mul_f64 v[4:5], v[4:5], s[0:1]
	v_mul_f64 v[0:1], v[0:1], s[0:1]
	v_cvt_f32_f64_e32 v4, v[4:5]
	v_cvt_f32_f64_e32 v5, v[0:1]
	v_mad_u64_u32 v[0:1], s[2:3], s4, v161, 0
	v_mov_b32_e32 v6, v1
	v_mad_u64_u32 v[6:7], s[2:3], s5, v161, v[6:7]
	v_mov_b32_e32 v1, v6
	v_lshl_add_u64 v[6:7], v[58:59], 3, v[56:57]
	v_lshl_add_u64 v[6:7], v[0:1], 3, v[6:7]
	v_mul_f32_e32 v0, v55, v3
	v_fmac_f32_e32 v0, v54, v2
	v_cvt_f64_f32_e32 v[0:1], v0
	v_mul_f64 v[0:1], v[0:1], s[0:1]
	global_store_dwordx2 v[6:7], v[4:5], off
	v_cvt_f32_f64_e32 v4, v[0:1]
	v_mul_f32_e32 v0, v55, v2
	v_fma_f32 v0, v54, v3, -v0
	v_cvt_f64_f32_e32 v[0:1], v0
	v_mul_f64 v[0:1], v[0:1], s[0:1]
	v_cvt_f32_f64_e32 v5, v[0:1]
	ds_read2_b64 v[0:3], v160 offset0:26 offset1:39
	v_mad_u64_u32 v[6:7], s[2:3], s4, v37, v[6:7]
	s_mul_i32 s2, s5, 0x68
	s_nop 0
	v_add_u32_e32 v7, s2, v7
	global_store_dwordx2 v[6:7], v[4:5], off
	s_waitcnt lgkmcnt(0)
	v_mul_f32_e32 v4, v51, v1
	v_fmac_f32_e32 v4, v50, v0
	v_mul_f32_e32 v0, v51, v0
	v_fma_f32 v0, v50, v1, -v0
	v_cvt_f64_f32_e32 v[4:5], v4
	v_cvt_f64_f32_e32 v[0:1], v0
	v_mul_f64 v[4:5], v[4:5], s[0:1]
	v_mul_f64 v[0:1], v[0:1], s[0:1]
	v_cvt_f32_f64_e32 v4, v[4:5]
	v_cvt_f32_f64_e32 v5, v[0:1]
	v_mul_f32_e32 v0, v45, v3
	v_fmac_f32_e32 v0, v44, v2
	v_mad_u64_u32 v[6:7], s[6:7], s4, v37, v[6:7]
	v_cvt_f64_f32_e32 v[0:1], v0
	v_add_u32_e32 v7, s2, v7
	v_mul_f64 v[0:1], v[0:1], s[0:1]
	global_store_dwordx2 v[6:7], v[4:5], off
	v_cvt_f32_f64_e32 v4, v[0:1]
	v_mul_f32_e32 v0, v45, v2
	v_fma_f32 v0, v44, v3, -v0
	v_cvt_f64_f32_e32 v[0:1], v0
	v_mul_f64 v[0:1], v[0:1], s[0:1]
	v_cvt_f32_f64_e32 v5, v[0:1]
	ds_read2_b64 v[0:3], v160 offset0:52 offset1:65
	v_mad_u64_u32 v[6:7], s[6:7], s4, v37, v[6:7]
	v_add_u32_e32 v7, s2, v7
	global_store_dwordx2 v[6:7], v[4:5], off
	s_waitcnt lgkmcnt(0)
	v_mul_f32_e32 v4, v49, v1
	v_fmac_f32_e32 v4, v48, v0
	v_mul_f32_e32 v0, v49, v0
	v_fma_f32 v0, v48, v1, -v0
	v_cvt_f64_f32_e32 v[4:5], v4
	v_cvt_f64_f32_e32 v[0:1], v0
	v_mul_f64 v[4:5], v[4:5], s[0:1]
	v_mul_f64 v[0:1], v[0:1], s[0:1]
	v_cvt_f32_f64_e32 v4, v[4:5]
	v_cvt_f32_f64_e32 v5, v[0:1]
	v_mul_f32_e32 v0, v47, v3
	v_fmac_f32_e32 v0, v46, v2
	v_mad_u64_u32 v[6:7], s[6:7], s4, v37, v[6:7]
	v_cvt_f64_f32_e32 v[0:1], v0
	v_add_u32_e32 v7, s2, v7
	v_mul_f64 v[0:1], v[0:1], s[0:1]
	global_store_dwordx2 v[6:7], v[4:5], off
	v_cvt_f32_f64_e32 v4, v[0:1]
	v_mul_f32_e32 v0, v47, v2
	v_fma_f32 v0, v46, v3, -v0
	v_cvt_f64_f32_e32 v[0:1], v0
	v_mul_f64 v[0:1], v[0:1], s[0:1]
	v_cvt_f32_f64_e32 v5, v[0:1]
	ds_read2_b64 v[0:3], v160 offset0:78 offset1:91
	v_mad_u64_u32 v[6:7], s[6:7], s4, v37, v[6:7]
	;; [unrolled: 28-line block ×4, first 2 shown]
	v_add_u32_e32 v7, s2, v7
	global_store_dwordx2 v[6:7], v[4:5], off
	s_waitcnt lgkmcnt(0)
	v_mul_f32_e32 v4, v33, v1
	v_fmac_f32_e32 v4, v32, v0
	v_mul_f32_e32 v0, v33, v0
	v_fma_f32 v0, v32, v1, -v0
	v_cvt_f64_f32_e32 v[4:5], v4
	v_cvt_f64_f32_e32 v[0:1], v0
	v_mul_f64 v[4:5], v[4:5], s[0:1]
	v_mul_f64 v[0:1], v[0:1], s[0:1]
	v_cvt_f32_f64_e32 v4, v[4:5]
	v_cvt_f32_f64_e32 v5, v[0:1]
	v_mad_u64_u32 v[0:1], s[6:7], s4, v37, v[6:7]
	v_add_u32_e32 v1, s2, v1
	global_store_dwordx2 v[0:1], v[4:5], off
	v_mul_f32_e32 v4, v31, v3
	v_fmac_f32_e32 v4, v30, v2
	v_mul_f32_e32 v2, v31, v2
	v_fma_f32 v2, v30, v3, -v2
	v_cvt_f64_f32_e32 v[4:5], v4
	v_cvt_f64_f32_e32 v[2:3], v2
	v_mul_f64 v[4:5], v[4:5], s[0:1]
	v_mul_f64 v[2:3], v[2:3], s[0:1]
	v_cvt_f32_f64_e32 v4, v[4:5]
	v_cvt_f32_f64_e32 v5, v[2:3]
	ds_read_b64 v[2:3], v160 offset:1248
	v_mad_u64_u32 v[0:1], s[6:7], s4, v37, v[0:1]
	v_add_u32_e32 v1, s2, v1
	global_store_dwordx2 v[0:1], v[4:5], off
	s_waitcnt lgkmcnt(0)
	v_mul_f32_e32 v4, v29, v3
	v_fmac_f32_e32 v4, v28, v2
	v_mul_f32_e32 v2, v29, v2
	v_fma_f32 v2, v28, v3, -v2
	v_cvt_f64_f32_e32 v[4:5], v4
	v_cvt_f64_f32_e32 v[2:3], v2
	v_mul_f64 v[4:5], v[4:5], s[0:1]
	v_mul_f64 v[2:3], v[2:3], s[0:1]
	v_mad_u64_u32 v[0:1], s[0:1], s4, v37, v[0:1]
	v_cvt_f32_f64_e32 v4, v[4:5]
	v_cvt_f32_f64_e32 v5, v[2:3]
	v_add_u32_e32 v1, s2, v1
	global_store_dwordx2 v[0:1], v[4:5], off
.LBB0_2:
	s_endpgm
	.section	.rodata,"a",@progbits
	.p2align	6, 0x0
	.amdhsa_kernel bluestein_single_fwd_len169_dim1_sp_op_CI_CI
		.amdhsa_group_segment_fixed_size 25688
		.amdhsa_private_segment_fixed_size 0
		.amdhsa_kernarg_size 104
		.amdhsa_user_sgpr_count 2
		.amdhsa_user_sgpr_dispatch_ptr 0
		.amdhsa_user_sgpr_queue_ptr 0
		.amdhsa_user_sgpr_kernarg_segment_ptr 1
		.amdhsa_user_sgpr_dispatch_id 0
		.amdhsa_user_sgpr_kernarg_preload_length 0
		.amdhsa_user_sgpr_kernarg_preload_offset 0
		.amdhsa_user_sgpr_private_segment_size 0
		.amdhsa_uses_dynamic_stack 0
		.amdhsa_enable_private_segment 0
		.amdhsa_system_sgpr_workgroup_id_x 1
		.amdhsa_system_sgpr_workgroup_id_y 0
		.amdhsa_system_sgpr_workgroup_id_z 0
		.amdhsa_system_sgpr_workgroup_info 0
		.amdhsa_system_vgpr_workitem_id 0
		.amdhsa_next_free_vgpr 228
		.amdhsa_next_free_sgpr 60
		.amdhsa_accum_offset 228
		.amdhsa_reserve_vcc 1
		.amdhsa_float_round_mode_32 0
		.amdhsa_float_round_mode_16_64 0
		.amdhsa_float_denorm_mode_32 3
		.amdhsa_float_denorm_mode_16_64 3
		.amdhsa_dx10_clamp 1
		.amdhsa_ieee_mode 1
		.amdhsa_fp16_overflow 0
		.amdhsa_tg_split 0
		.amdhsa_exception_fp_ieee_invalid_op 0
		.amdhsa_exception_fp_denorm_src 0
		.amdhsa_exception_fp_ieee_div_zero 0
		.amdhsa_exception_fp_ieee_overflow 0
		.amdhsa_exception_fp_ieee_underflow 0
		.amdhsa_exception_fp_ieee_inexact 0
		.amdhsa_exception_int_div_zero 0
	.end_amdhsa_kernel
	.text
.Lfunc_end0:
	.size	bluestein_single_fwd_len169_dim1_sp_op_CI_CI, .Lfunc_end0-bluestein_single_fwd_len169_dim1_sp_op_CI_CI
                                        ; -- End function
	.section	.AMDGPU.csdata,"",@progbits
; Kernel info:
; codeLenInByte = 13108
; NumSgprs: 66
; NumVgprs: 228
; NumAgprs: 0
; TotalNumVgprs: 228
; ScratchSize: 0
; MemoryBound: 0
; FloatMode: 240
; IeeeMode: 1
; LDSByteSize: 25688 bytes/workgroup (compile time only)
; SGPRBlocks: 8
; VGPRBlocks: 28
; NumSGPRsForWavesPerEU: 66
; NumVGPRsForWavesPerEU: 228
; AccumOffset: 228
; Occupancy: 2
; WaveLimiterHint : 1
; COMPUTE_PGM_RSRC2:SCRATCH_EN: 0
; COMPUTE_PGM_RSRC2:USER_SGPR: 2
; COMPUTE_PGM_RSRC2:TRAP_HANDLER: 0
; COMPUTE_PGM_RSRC2:TGID_X_EN: 1
; COMPUTE_PGM_RSRC2:TGID_Y_EN: 0
; COMPUTE_PGM_RSRC2:TGID_Z_EN: 0
; COMPUTE_PGM_RSRC2:TIDIG_COMP_CNT: 0
; COMPUTE_PGM_RSRC3_GFX90A:ACCUM_OFFSET: 56
; COMPUTE_PGM_RSRC3_GFX90A:TG_SPLIT: 0
	.text
	.p2alignl 6, 3212836864
	.fill 256, 4, 3212836864
	.type	__hip_cuid_5b1839640fd79222,@object ; @__hip_cuid_5b1839640fd79222
	.section	.bss,"aw",@nobits
	.globl	__hip_cuid_5b1839640fd79222
__hip_cuid_5b1839640fd79222:
	.byte	0                               ; 0x0
	.size	__hip_cuid_5b1839640fd79222, 1

	.ident	"AMD clang version 19.0.0git (https://github.com/RadeonOpenCompute/llvm-project roc-6.4.0 25133 c7fe45cf4b819c5991fe208aaa96edf142730f1d)"
	.section	".note.GNU-stack","",@progbits
	.addrsig
	.addrsig_sym __hip_cuid_5b1839640fd79222
	.amdgpu_metadata
---
amdhsa.kernels:
  - .agpr_count:     0
    .args:
      - .actual_access:  read_only
        .address_space:  global
        .offset:         0
        .size:           8
        .value_kind:     global_buffer
      - .actual_access:  read_only
        .address_space:  global
        .offset:         8
        .size:           8
        .value_kind:     global_buffer
      - .actual_access:  read_only
        .address_space:  global
        .offset:         16
        .size:           8
        .value_kind:     global_buffer
      - .actual_access:  read_only
        .address_space:  global
        .offset:         24
        .size:           8
        .value_kind:     global_buffer
      - .actual_access:  read_only
        .address_space:  global
        .offset:         32
        .size:           8
        .value_kind:     global_buffer
      - .offset:         40
        .size:           8
        .value_kind:     by_value
      - .address_space:  global
        .offset:         48
        .size:           8
        .value_kind:     global_buffer
      - .address_space:  global
        .offset:         56
        .size:           8
        .value_kind:     global_buffer
      - .address_space:  global
        .offset:         64
        .size:           8
        .value_kind:     global_buffer
      - .address_space:  global
        .offset:         72
        .size:           8
        .value_kind:     global_buffer
      - .offset:         80
        .size:           4
        .value_kind:     by_value
      - .address_space:  global
        .offset:         88
        .size:           8
        .value_kind:     global_buffer
      - .address_space:  global
        .offset:         96
        .size:           8
        .value_kind:     global_buffer
    .group_segment_fixed_size: 25688
    .kernarg_segment_align: 8
    .kernarg_segment_size: 104
    .language:       OpenCL C
    .language_version:
      - 2
      - 0
    .max_flat_workgroup_size: 247
    .name:           bluestein_single_fwd_len169_dim1_sp_op_CI_CI
    .private_segment_fixed_size: 0
    .sgpr_count:     66
    .sgpr_spill_count: 0
    .symbol:         bluestein_single_fwd_len169_dim1_sp_op_CI_CI.kd
    .uniform_work_group_size: 1
    .uses_dynamic_stack: false
    .vgpr_count:     228
    .vgpr_spill_count: 0
    .wavefront_size: 64
amdhsa.target:   amdgcn-amd-amdhsa--gfx950
amdhsa.version:
  - 1
  - 2
...

	.end_amdgpu_metadata
